;; amdgpu-corpus repo=ROCm/rocFFT kind=compiled arch=gfx906 opt=O3
	.text
	.amdgcn_target "amdgcn-amd-amdhsa--gfx906"
	.amdhsa_code_object_version 6
	.protected	fft_rtc_back_len1575_factors_3_3_5_7_5_wgs_63_tpt_63_halfLds_dp_ip_CI_unitstride_sbrr_dirReg ; -- Begin function fft_rtc_back_len1575_factors_3_3_5_7_5_wgs_63_tpt_63_halfLds_dp_ip_CI_unitstride_sbrr_dirReg
	.globl	fft_rtc_back_len1575_factors_3_3_5_7_5_wgs_63_tpt_63_halfLds_dp_ip_CI_unitstride_sbrr_dirReg
	.p2align	8
	.type	fft_rtc_back_len1575_factors_3_3_5_7_5_wgs_63_tpt_63_halfLds_dp_ip_CI_unitstride_sbrr_dirReg,@function
fft_rtc_back_len1575_factors_3_3_5_7_5_wgs_63_tpt_63_halfLds_dp_ip_CI_unitstride_sbrr_dirReg: ; @fft_rtc_back_len1575_factors_3_3_5_7_5_wgs_63_tpt_63_halfLds_dp_ip_CI_unitstride_sbrr_dirReg
; %bb.0:
	s_load_dwordx2 s[12:13], s[4:5], 0x50
	s_load_dwordx4 s[8:11], s[4:5], 0x0
	s_load_dwordx2 s[2:3], s[4:5], 0x18
	v_mul_u32_u24_e32 v1, 0x411, v0
	v_add_u32_sdwa v5, s6, v1 dst_sel:DWORD dst_unused:UNUSED_PAD src0_sel:DWORD src1_sel:WORD_1
	v_mov_b32_e32 v3, 0
	s_waitcnt lgkmcnt(0)
	v_cmp_lt_u64_e64 s[0:1], s[10:11], 2
	v_mov_b32_e32 v1, 0
	v_mov_b32_e32 v6, v3
	s_and_b64 vcc, exec, s[0:1]
	v_mov_b32_e32 v2, 0
	s_cbranch_vccnz .LBB0_8
; %bb.1:
	s_load_dwordx2 s[0:1], s[4:5], 0x10
	s_add_u32 s6, s2, 8
	s_addc_u32 s7, s3, 0
	v_mov_b32_e32 v1, 0
	v_mov_b32_e32 v2, 0
	s_waitcnt lgkmcnt(0)
	s_add_u32 s14, s0, 8
	s_addc_u32 s15, s1, 0
	s_mov_b64 s[16:17], 1
.LBB0_2:                                ; =>This Inner Loop Header: Depth=1
	s_load_dwordx2 s[18:19], s[14:15], 0x0
                                        ; implicit-def: $vgpr7_vgpr8
	s_waitcnt lgkmcnt(0)
	v_or_b32_e32 v4, s19, v6
	v_cmp_ne_u64_e32 vcc, 0, v[3:4]
	s_and_saveexec_b64 s[0:1], vcc
	s_xor_b64 s[20:21], exec, s[0:1]
	s_cbranch_execz .LBB0_4
; %bb.3:                                ;   in Loop: Header=BB0_2 Depth=1
	v_cvt_f32_u32_e32 v4, s18
	v_cvt_f32_u32_e32 v7, s19
	s_sub_u32 s0, 0, s18
	s_subb_u32 s1, 0, s19
	v_mac_f32_e32 v4, 0x4f800000, v7
	v_rcp_f32_e32 v4, v4
	v_mul_f32_e32 v4, 0x5f7ffffc, v4
	v_mul_f32_e32 v7, 0x2f800000, v4
	v_trunc_f32_e32 v7, v7
	v_mac_f32_e32 v4, 0xcf800000, v7
	v_cvt_u32_f32_e32 v7, v7
	v_cvt_u32_f32_e32 v4, v4
	v_mul_lo_u32 v8, s0, v7
	v_mul_hi_u32 v9, s0, v4
	v_mul_lo_u32 v11, s1, v4
	v_mul_lo_u32 v10, s0, v4
	v_add_u32_e32 v8, v9, v8
	v_add_u32_e32 v8, v8, v11
	v_mul_hi_u32 v9, v4, v10
	v_mul_lo_u32 v11, v4, v8
	v_mul_hi_u32 v13, v4, v8
	v_mul_hi_u32 v12, v7, v10
	v_mul_lo_u32 v10, v7, v10
	v_mul_hi_u32 v14, v7, v8
	v_add_co_u32_e32 v9, vcc, v9, v11
	v_addc_co_u32_e32 v11, vcc, 0, v13, vcc
	v_mul_lo_u32 v8, v7, v8
	v_add_co_u32_e32 v9, vcc, v9, v10
	v_addc_co_u32_e32 v9, vcc, v11, v12, vcc
	v_addc_co_u32_e32 v10, vcc, 0, v14, vcc
	v_add_co_u32_e32 v8, vcc, v9, v8
	v_addc_co_u32_e32 v9, vcc, 0, v10, vcc
	v_add_co_u32_e32 v4, vcc, v4, v8
	v_addc_co_u32_e32 v7, vcc, v7, v9, vcc
	v_mul_lo_u32 v8, s0, v7
	v_mul_hi_u32 v9, s0, v4
	v_mul_lo_u32 v10, s1, v4
	v_mul_lo_u32 v11, s0, v4
	v_add_u32_e32 v8, v9, v8
	v_add_u32_e32 v8, v8, v10
	v_mul_lo_u32 v12, v4, v8
	v_mul_hi_u32 v13, v4, v11
	v_mul_hi_u32 v14, v4, v8
	;; [unrolled: 1-line block ×3, first 2 shown]
	v_mul_lo_u32 v11, v7, v11
	v_mul_hi_u32 v9, v7, v8
	v_add_co_u32_e32 v12, vcc, v13, v12
	v_addc_co_u32_e32 v13, vcc, 0, v14, vcc
	v_mul_lo_u32 v8, v7, v8
	v_add_co_u32_e32 v11, vcc, v12, v11
	v_addc_co_u32_e32 v10, vcc, v13, v10, vcc
	v_addc_co_u32_e32 v9, vcc, 0, v9, vcc
	v_add_co_u32_e32 v8, vcc, v10, v8
	v_addc_co_u32_e32 v9, vcc, 0, v9, vcc
	v_add_co_u32_e32 v4, vcc, v4, v8
	v_addc_co_u32_e32 v9, vcc, v7, v9, vcc
	v_mad_u64_u32 v[7:8], s[0:1], v5, v9, 0
	v_mul_hi_u32 v10, v5, v4
	v_add_co_u32_e32 v11, vcc, v10, v7
	v_addc_co_u32_e32 v12, vcc, 0, v8, vcc
	v_mad_u64_u32 v[7:8], s[0:1], v6, v4, 0
	v_mad_u64_u32 v[9:10], s[0:1], v6, v9, 0
	v_add_co_u32_e32 v4, vcc, v11, v7
	v_addc_co_u32_e32 v4, vcc, v12, v8, vcc
	v_addc_co_u32_e32 v7, vcc, 0, v10, vcc
	v_add_co_u32_e32 v4, vcc, v4, v9
	v_addc_co_u32_e32 v9, vcc, 0, v7, vcc
	v_mul_lo_u32 v10, s19, v4
	v_mul_lo_u32 v11, s18, v9
	v_mad_u64_u32 v[7:8], s[0:1], s18, v4, 0
	v_add3_u32 v8, v8, v11, v10
	v_sub_u32_e32 v10, v6, v8
	v_mov_b32_e32 v11, s19
	v_sub_co_u32_e32 v7, vcc, v5, v7
	v_subb_co_u32_e64 v10, s[0:1], v10, v11, vcc
	v_subrev_co_u32_e64 v11, s[0:1], s18, v7
	v_subbrev_co_u32_e64 v10, s[0:1], 0, v10, s[0:1]
	v_cmp_le_u32_e64 s[0:1], s19, v10
	v_cndmask_b32_e64 v12, 0, -1, s[0:1]
	v_cmp_le_u32_e64 s[0:1], s18, v11
	v_cndmask_b32_e64 v11, 0, -1, s[0:1]
	v_cmp_eq_u32_e64 s[0:1], s19, v10
	v_cndmask_b32_e64 v10, v12, v11, s[0:1]
	v_add_co_u32_e64 v11, s[0:1], 2, v4
	v_addc_co_u32_e64 v12, s[0:1], 0, v9, s[0:1]
	v_add_co_u32_e64 v13, s[0:1], 1, v4
	v_addc_co_u32_e64 v14, s[0:1], 0, v9, s[0:1]
	v_subb_co_u32_e32 v8, vcc, v6, v8, vcc
	v_cmp_ne_u32_e64 s[0:1], 0, v10
	v_cmp_le_u32_e32 vcc, s19, v8
	v_cndmask_b32_e64 v10, v14, v12, s[0:1]
	v_cndmask_b32_e64 v12, 0, -1, vcc
	v_cmp_le_u32_e32 vcc, s18, v7
	v_cndmask_b32_e64 v7, 0, -1, vcc
	v_cmp_eq_u32_e32 vcc, s19, v8
	v_cndmask_b32_e32 v7, v12, v7, vcc
	v_cmp_ne_u32_e32 vcc, 0, v7
	v_cndmask_b32_e64 v7, v13, v11, s[0:1]
	v_cndmask_b32_e32 v8, v9, v10, vcc
	v_cndmask_b32_e32 v7, v4, v7, vcc
.LBB0_4:                                ;   in Loop: Header=BB0_2 Depth=1
	s_andn2_saveexec_b64 s[0:1], s[20:21]
	s_cbranch_execz .LBB0_6
; %bb.5:                                ;   in Loop: Header=BB0_2 Depth=1
	v_cvt_f32_u32_e32 v4, s18
	s_sub_i32 s20, 0, s18
	v_rcp_iflag_f32_e32 v4, v4
	v_mul_f32_e32 v4, 0x4f7ffffe, v4
	v_cvt_u32_f32_e32 v4, v4
	v_mul_lo_u32 v7, s20, v4
	v_mul_hi_u32 v7, v4, v7
	v_add_u32_e32 v4, v4, v7
	v_mul_hi_u32 v4, v5, v4
	v_mul_lo_u32 v7, v4, s18
	v_add_u32_e32 v8, 1, v4
	v_sub_u32_e32 v7, v5, v7
	v_subrev_u32_e32 v9, s18, v7
	v_cmp_le_u32_e32 vcc, s18, v7
	v_cndmask_b32_e32 v7, v7, v9, vcc
	v_cndmask_b32_e32 v4, v4, v8, vcc
	v_add_u32_e32 v8, 1, v4
	v_cmp_le_u32_e32 vcc, s18, v7
	v_cndmask_b32_e32 v7, v4, v8, vcc
	v_mov_b32_e32 v8, v3
.LBB0_6:                                ;   in Loop: Header=BB0_2 Depth=1
	s_or_b64 exec, exec, s[0:1]
	v_mul_lo_u32 v4, v8, s18
	v_mul_lo_u32 v11, v7, s19
	v_mad_u64_u32 v[9:10], s[0:1], v7, s18, 0
	s_load_dwordx2 s[0:1], s[6:7], 0x0
	s_add_u32 s16, s16, 1
	v_add3_u32 v4, v10, v11, v4
	v_sub_co_u32_e32 v5, vcc, v5, v9
	v_subb_co_u32_e32 v4, vcc, v6, v4, vcc
	s_waitcnt lgkmcnt(0)
	v_mul_lo_u32 v4, s0, v4
	v_mul_lo_u32 v6, s1, v5
	v_mad_u64_u32 v[1:2], s[0:1], s0, v5, v[1:2]
	s_addc_u32 s17, s17, 0
	s_add_u32 s6, s6, 8
	v_add3_u32 v2, v6, v2, v4
	v_mov_b32_e32 v4, s10
	v_mov_b32_e32 v5, s11
	s_addc_u32 s7, s7, 0
	v_cmp_ge_u64_e32 vcc, s[16:17], v[4:5]
	s_add_u32 s14, s14, 8
	s_addc_u32 s15, s15, 0
	s_cbranch_vccnz .LBB0_9
; %bb.7:                                ;   in Loop: Header=BB0_2 Depth=1
	v_mov_b32_e32 v5, v7
	v_mov_b32_e32 v6, v8
	s_branch .LBB0_2
.LBB0_8:
	v_mov_b32_e32 v8, v6
	v_mov_b32_e32 v7, v5
.LBB0_9:
	s_lshl_b64 s[0:1], s[10:11], 3
	s_add_u32 s0, s2, s0
	s_addc_u32 s1, s3, s1
	s_load_dwordx2 s[2:3], s[0:1], 0x0
	s_load_dwordx2 s[6:7], s[4:5], 0x20
                                        ; implicit-def: $vgpr70_vgpr71
                                        ; implicit-def: $vgpr58_vgpr59
                                        ; implicit-def: $vgpr54_vgpr55
                                        ; implicit-def: $vgpr18_vgpr19
                                        ; implicit-def: $vgpr26_vgpr27
                                        ; implicit-def: $vgpr34_vgpr35
                                        ; implicit-def: $vgpr42_vgpr43
                                        ; implicit-def: $vgpr66_vgpr67
                                        ; implicit-def: $vgpr74_vgpr75
                                        ; implicit-def: $vgpr84_vgpr85
                                        ; implicit-def: $vgpr78_vgpr79
                                        ; implicit-def: $vgpr14_vgpr15
                                        ; implicit-def: $vgpr90_vgpr91
                                        ; implicit-def: $vgpr10_vgpr11
                                        ; implicit-def: $vgpr22_vgpr23
                                        ; implicit-def: $vgpr96_vgpr97
                                        ; implicit-def: $vgpr38_vgpr39
                                        ; implicit-def: $vgpr30_vgpr31
                                        ; implicit-def: $vgpr102_vgpr103
                                        ; implicit-def: $vgpr46_vgpr47
                                        ; implicit-def: $vgpr50_vgpr51
                                        ; implicit-def: $vgpr106_vgpr107
                                        ; implicit-def: $vgpr62_vgpr63
                                        ; implicit-def: $vgpr118_vgpr119
                                        ; implicit-def: $vgpr110_vgpr111
	s_waitcnt lgkmcnt(0)
	v_mad_u64_u32 v[1:2], s[0:1], s2, v7, v[1:2]
	v_mul_lo_u32 v3, s2, v8
	v_mul_lo_u32 v4, s3, v7
	s_mov_b32 s0, 0x4104105
	v_mul_hi_u32 v5, v0, s0
	v_cmp_gt_u64_e64 s[0:1], s[6:7], v[7:8]
	v_add3_u32 v2, v4, v2, v3
	v_lshlrev_b64 v[150:151], 4, v[1:2]
	v_mul_u32_u24_e32 v3, 63, v5
	v_sub_u32_e32 v148, v0, v3
                                        ; implicit-def: $vgpr6_vgpr7
                                        ; implicit-def: $vgpr2_vgpr3
	s_and_saveexec_b64 s[2:3], s[0:1]
	s_cbranch_execz .LBB0_13
; %bb.10:
	v_mov_b32_e32 v149, 0
	v_mov_b32_e32 v0, s13
	v_add_co_u32_e32 v2, vcc, s12, v150
	v_addc_co_u32_e32 v3, vcc, v0, v151, vcc
	v_lshlrev_b64 v[0:1], 4, v[148:149]
	s_movk_i32 s4, 0x3000
	v_add_co_u32_e32 v70, vcc, v2, v0
	v_addc_co_u32_e32 v71, vcc, v3, v1, vcc
	v_add_co_u32_e32 v52, vcc, 0x2000, v70
	v_addc_co_u32_e32 v53, vcc, 0, v71, vcc
	;; [unrolled: 2-line block ×4, first 2 shown]
	s_movk_i32 s4, 0x5000
	v_add_co_u32_e32 v56, vcc, s4, v70
	v_addc_co_u32_e32 v57, vcc, 0, v71, vcc
	s_movk_i32 s4, 0x1000
	v_add_co_u32_e32 v58, vcc, s4, v70
	v_addc_co_u32_e32 v59, vcc, 0, v71, vcc
	global_load_dwordx4 v[48:51], v[52:53], off offset:1216
	global_load_dwordx4 v[28:31], v[52:53], off offset:2224
	;; [unrolled: 1-line block ×8, first 2 shown]
	s_nop 0
	global_load_dwordx4 v[0:3], v[58:59], off offset:1952
	global_load_dwordx4 v[4:7], v[58:59], off offset:2960
	;; [unrolled: 1-line block ×10, first 2 shown]
	global_load_dwordx4 v[108:111], v[70:71], off
	global_load_dwordx4 v[104:107], v[70:71], off offset:1008
	global_load_dwordx4 v[100:103], v[70:71], off offset:2016
	;; [unrolled: 1-line block ×4, first 2 shown]
                                        ; kill: killed $vgpr52 killed $vgpr53
                                        ; kill: killed $vgpr58 killed $vgpr59
                                        ; kill: killed $vgpr56 killed $vgpr57
                                        ; kill: killed $vgpr54 killed $vgpr55
	global_load_dwordx4 v[88:91], v[70:71], off offset:4032
	v_cmp_gt_u32_e32 vcc, 21, v148
                                        ; implicit-def: $vgpr52_vgpr53
                                        ; implicit-def: $vgpr56_vgpr57
                                        ; implicit-def: $vgpr68_vgpr69
	s_and_saveexec_b64 s[4:5], vcc
	s_cbranch_execz .LBB0_12
; %bb.11:
	v_add_co_u32_e32 v68, vcc, 0x1000, v70
	v_addc_co_u32_e32 v69, vcc, 0, v71, vcc
	v_add_co_u32_e32 v80, vcc, 0x4000, v70
	v_addc_co_u32_e32 v81, vcc, 0, v71, vcc
	global_load_dwordx4 v[52:55], v[68:69], off offset:3968
	global_load_dwordx4 v[56:59], v[80:81], off offset:80
	v_add_co_u32_e32 v68, vcc, 0x6000, v70
	v_addc_co_u32_e32 v69, vcc, 0, v71, vcc
	global_load_dwordx4 v[68:71], v[68:69], off offset:288
.LBB0_12:
	s_or_b64 exec, exec, s[4:5]
.LBB0_13:
	s_or_b64 exec, exec, s[2:3]
	s_waitcnt vmcnt(1)
	v_add_f64 v[80:81], v[60:61], v[116:117]
	v_add_f64 v[86:87], v[44:45], v[48:49]
	;; [unrolled: 1-line block ×3, first 2 shown]
	v_add_f64 v[98:99], v[118:119], -v[62:63]
	v_add_f64 v[112:113], v[48:49], v[104:105]
	v_add_f64 v[114:115], v[50:51], -v[46:47]
	s_mov_b32 s2, 0xe8584caa
	s_mov_b32 s3, 0xbfebb67a
	v_fma_f64 v[80:81], v[80:81], -0.5, v[108:109]
	v_fma_f64 v[86:87], v[86:87], -0.5, v[104:105]
	v_add_f64 v[104:105], v[36:37], v[28:29]
	v_add_f64 v[92:93], v[60:61], v[92:93]
	s_mov_b32 s5, 0x3febb67a
	v_add_f64 v[112:113], v[44:45], v[112:113]
	v_add_f64 v[126:127], v[8:9], v[20:21]
	s_mov_b32 s4, s2
	v_fma_f64 v[120:121], v[98:99], s[2:3], v[80:81]
	v_fma_f64 v[122:123], v[114:115], s[2:3], v[86:87]
	v_add_f64 v[108:109], v[28:29], v[100:101]
	v_add_f64 v[124:125], v[30:31], -v[38:39]
	v_fma_f64 v[80:81], v[98:99], s[4:5], v[80:81]
	v_fma_f64 v[86:87], v[114:115], s[4:5], v[86:87]
	v_fma_f64 v[98:99], v[104:105], -0.5, v[100:101]
	v_mad_u32_u24 v152, v148, 24, 0
	ds_write2_b64 v152, v[92:93], v[120:121] offset1:1
	ds_write2_b64 v152, v[112:113], v[122:123] offset0:189 offset1:190
	v_add_f64 v[92:93], v[76:77], v[12:13]
	v_fma_f64 v[100:101], v[126:127], -0.5, v[94:95]
	v_add_f64 v[104:105], v[22:23], -v[10:11]
	v_add_f64 v[108:109], v[36:37], v[108:109]
	ds_write2_b64 v152, v[80:81], v[86:87] offset0:2 offset1:191
	v_fma_f64 v[80:81], v[124:125], s[2:3], v[98:99]
	v_fma_f64 v[86:87], v[124:125], s[4:5], v[98:99]
	s_waitcnt vmcnt(0)
	v_add_f64 v[98:99], v[12:13], v[88:89]
	v_fma_f64 v[88:89], v[92:93], -0.5, v[88:89]
	v_add_f64 v[92:93], v[14:15], -v[78:79]
	v_fma_f64 v[112:113], v[104:105], s[4:5], v[100:101]
	v_add_u32_e32 v120, 0xbd0, v152
	v_add_f64 v[114:115], v[72:73], v[82:83]
	ds_write2_b64 v120, v[108:109], v[80:81] offset1:1
	v_add_f64 v[80:81], v[64:65], v[72:73]
	v_add_u32_e32 v120, 0xa00, v152
	v_add_f64 v[98:99], v[76:77], v[98:99]
	v_fma_f64 v[108:109], v[92:93], s[2:3], v[88:89]
	ds_write2_b64 v120, v[86:87], v[112:113] offset0:60 offset1:249
	v_fma_f64 v[86:87], v[92:93], s[4:5], v[88:89]
	v_add_f64 v[88:89], v[64:65], v[114:115]
	v_add_f64 v[92:93], v[20:21], v[94:95]
	v_fma_f64 v[80:81], v[80:81], -0.5, v[82:83]
	v_add_f64 v[82:83], v[74:75], -v[66:67]
	v_add_u32_e32 v94, 0x17a0, v152
	ds_write2_b64 v94, v[98:99], v[108:109] offset1:1
	v_add_u32_e32 v98, 0x1600, v152
	v_add_f64 v[94:95], v[32:33], v[40:41]
	ds_write2_b64 v98, v[86:87], v[88:89] offset0:54 offset1:241
	v_add_f64 v[86:87], v[8:9], v[92:93]
	v_fma_f64 v[88:89], v[104:105], s[2:3], v[100:101]
	v_fma_f64 v[92:93], v[82:83], s[2:3], v[80:81]
	;; [unrolled: 1-line block ×3, first 2 shown]
	v_add_f64 v[98:99], v[16:17], v[24:25]
	v_add_f64 v[100:101], v[68:69], v[56:57]
	;; [unrolled: 1-line block ×3, first 2 shown]
	v_fma_f64 v[94:95], v[94:95], -0.5, v[0:1]
	v_add_u32_e32 v0, 0x11b8, v152
	ds_write2_b64 v0, v[86:87], v[88:89] offset1:1
	v_add_f64 v[86:87], v[42:43], -v[34:35]
	v_add_u32_e32 v1, 0x1d90, v152
	ds_write2_b64 v1, v[92:93], v[80:81] offset1:1
	v_fma_f64 v[80:81], v[98:99], -0.5, v[4:5]
	v_add_f64 v[88:89], v[26:27], -v[18:19]
	v_add_f64 v[4:5], v[24:25], v[4:5]
	v_fma_f64 v[92:93], v[100:101], -0.5, v[52:53]
	v_add_f64 v[98:99], v[58:59], -v[70:71]
	v_add_f64 v[52:53], v[56:57], v[52:53]
	v_add_f64 v[82:83], v[32:33], v[82:83]
	v_fma_f64 v[100:101], v[86:87], s[2:3], v[94:95]
	v_fma_f64 v[86:87], v[86:87], s[4:5], v[94:95]
	;; [unrolled: 1-line block ×3, first 2 shown]
	v_add_f64 v[4:5], v[16:17], v[4:5]
	v_fma_f64 v[80:81], v[88:89], s[4:5], v[80:81]
	v_fma_f64 v[108:109], v[98:99], s[2:3], v[92:93]
	;; [unrolled: 1-line block ×3, first 2 shown]
	v_add_f64 v[52:53], v[68:69], v[52:53]
	v_add_u32_e32 v1, 0x2378, v152
	ds_write_b64 v152, v[82:83] offset:9072
	ds_write2_b64 v1, v[100:101], v[86:87] offset1:1
	ds_write_b64 v152, v[4:5] offset:10584
	v_add_u32_e32 v1, 0x2960, v152
	v_cmp_gt_u32_e32 vcc, 21, v148
	ds_write2_b64 v1, v[94:95], v[80:81] offset1:1
	s_and_saveexec_b64 s[2:3], vcc
	s_cbranch_execz .LBB0_15
; %bb.14:
	v_add_u32_e32 v1, 0x1d88, v0
	ds_write2_b64 v1, v[52:53], v[108:109] offset1:1
	ds_write_b64 v0, v[104:105] offset:7576
.LBB0_15:
	s_or_b64 exec, exec, s[2:3]
	v_lshl_add_u32 v149, v148, 3, 0
	v_add_u32_e32 v1, 0x1000, v149
	v_add_u32_e32 v4, 0x2000, v149
	s_waitcnt lgkmcnt(0)
	; wave barrier
	s_waitcnt lgkmcnt(0)
	ds_read2_b64 v[98:101], v149 offset1:63
	ds_read2_b64 v[140:143], v1 offset0:13 offset1:76
	ds_read2_b64 v[144:147], v4 offset0:26 offset1:89
	;; [unrolled: 1-line block ×5, first 2 shown]
	v_add_u32_e32 v1, 0x400, v149
	ds_read2_b64 v[86:89], v1 offset0:124 offset1:187
	v_add_u32_e32 v1, 0x1800, v149
	v_add_u32_e32 v4, 0x2800, v149
	;; [unrolled: 1-line block ×3, first 2 shown]
	ds_read2_b64 v[128:131], v1 offset0:9 offset1:72
	ds_read2_b64 v[124:127], v4 offset0:22 offset1:85
	;; [unrolled: 1-line block ×5, first 2 shown]
	s_and_saveexec_b64 s[2:3], vcc
	s_cbranch_execz .LBB0_17
; %bb.16:
	ds_read_b64 v[52:53], v149 offset:4032
	ds_read_b64 v[108:109], v149 offset:8232
	;; [unrolled: 1-line block ×3, first 2 shown]
.LBB0_17:
	s_or_b64 exec, exec, s[2:3]
	v_add_f64 v[4:5], v[62:63], v[118:119]
	v_add_f64 v[60:61], v[116:117], -v[60:61]
	v_add_f64 v[116:117], v[46:47], v[50:51]
	v_add_f64 v[50:51], v[50:51], v[106:107]
	v_add_f64 v[44:45], v[48:49], -v[44:45]
	v_add_f64 v[48:49], v[30:31], v[102:103]
	v_add_f64 v[30:31], v[38:39], v[30:31]
	s_mov_b32 s2, 0xe8584caa
	v_fma_f64 v[4:5], v[4:5], -0.5, v[110:111]
	s_mov_b32 s3, 0x3febb67a
	s_mov_b32 s5, 0xbfebb67a
	v_add_f64 v[46:47], v[46:47], v[50:51]
	v_add_f64 v[50:51], v[10:11], v[22:23]
	s_mov_b32 s4, s2
	v_fma_f64 v[30:31], v[30:31], -0.5, v[102:103]
	v_add_f64 v[28:29], v[28:29], -v[36:37]
	v_add_f64 v[38:39], v[38:39], v[48:49]
	v_add_f64 v[48:49], v[78:79], v[14:15]
	;; [unrolled: 1-line block ×3, first 2 shown]
	v_fma_f64 v[110:111], v[60:61], s[2:3], v[4:5]
	v_fma_f64 v[4:5], v[60:61], s[4:5], v[4:5]
	v_add_f64 v[60:61], v[66:67], v[74:75]
	v_add_f64 v[22:23], v[22:23], v[96:97]
	v_fma_f64 v[50:51], v[50:51], -0.5, v[96:97]
	v_add_f64 v[8:9], v[20:21], -v[8:9]
	v_fma_f64 v[20:21], v[28:29], s[2:3], v[30:31]
	v_fma_f64 v[28:29], v[28:29], s[4:5], v[30:31]
	v_fma_f64 v[30:31], v[48:49], -0.5, v[90:91]
	v_add_f64 v[12:13], v[12:13], -v[76:77]
	v_add_f64 v[48:49], v[74:75], v[84:85]
	v_fma_f64 v[60:61], v[60:61], -0.5, v[84:85]
	v_add_f64 v[64:65], v[72:73], -v[64:65]
	v_add_f64 v[10:11], v[10:11], v[22:23]
	v_fma_f64 v[22:23], v[8:9], s[2:3], v[50:51]
	v_fma_f64 v[8:9], v[8:9], s[4:5], v[50:51]
	v_add_f64 v[50:51], v[34:35], v[42:43]
	v_fma_f64 v[72:73], v[12:13], s[2:3], v[30:31]
	v_fma_f64 v[12:13], v[12:13], s[4:5], v[30:31]
	v_add_f64 v[30:31], v[66:67], v[48:49]
	v_add_f64 v[48:49], v[18:19], v[26:27]
	v_fma_f64 v[66:67], v[64:65], s[2:3], v[60:61]
	v_fma_f64 v[60:61], v[64:65], s[4:5], v[60:61]
	v_add_f64 v[64:65], v[70:71], v[58:59]
	v_fma_f64 v[106:107], v[116:117], -0.5, v[106:107]
	v_add_f64 v[14:15], v[14:15], v[90:91]
	v_add_f64 v[42:43], v[42:43], v[2:3]
	v_fma_f64 v[1:2], v[50:51], -0.5, v[2:3]
	v_add_f64 v[32:33], v[40:41], -v[32:33]
	v_add_f64 v[26:27], v[26:27], v[6:7]
	v_fma_f64 v[6:7], v[48:49], -0.5, v[6:7]
	v_add_f64 v[16:17], v[24:25], -v[16:17]
	v_add_f64 v[62:63], v[62:63], v[118:119]
	v_add_f64 v[24:25], v[58:59], v[54:55]
	v_fma_f64 v[40:41], v[64:65], -0.5, v[54:55]
	v_add_f64 v[48:49], v[56:57], -v[68:69]
	v_fma_f64 v[36:37], v[44:45], s[2:3], v[106:107]
	v_fma_f64 v[44:45], v[44:45], s[4:5], v[106:107]
	v_add_f64 v[14:15], v[78:79], v[14:15]
	v_add_f64 v[34:35], v[34:35], v[42:43]
	v_fma_f64 v[42:43], v[32:33], s[2:3], v[1:2]
	v_add_f64 v[18:19], v[18:19], v[26:27]
	v_fma_f64 v[26:27], v[16:17], s[2:3], v[6:7]
	v_add_u32_e32 v3, 0xbd0, v152
	v_fma_f64 v[1:2], v[32:33], s[4:5], v[1:2]
	v_fma_f64 v[6:7], v[16:17], s[4:5], v[6:7]
	v_add_f64 v[68:69], v[70:71], v[24:25]
	v_fma_f64 v[50:51], v[48:49], s[2:3], v[40:41]
	v_fma_f64 v[48:49], v[48:49], s[4:5], v[40:41]
	s_waitcnt lgkmcnt(0)
	; wave barrier
	s_waitcnt lgkmcnt(0)
	ds_write2_b64 v152, v[62:63], v[110:111] offset1:1
	ds_write2_b64 v152, v[46:47], v[36:37] offset0:189 offset1:190
	ds_write2_b64 v152, v[4:5], v[44:45] offset0:2 offset1:191
	ds_write2_b64 v3, v[38:39], v[20:21] offset1:1
	v_add_u32_e32 v3, 0x11b8, v152
	ds_write2_b64 v3, v[10:11], v[22:23] offset1:1
	v_add_u32_e32 v3, 0xa00, v152
	ds_write2_b64 v3, v[28:29], v[8:9] offset0:60 offset1:249
	v_add_u32_e32 v3, 0x17a0, v152
	ds_write2_b64 v3, v[14:15], v[72:73] offset1:1
	v_add_u32_e32 v3, 0x1d88, v152
	ds_write2_b64 v3, v[30:31], v[66:67] offset1:1
	v_add_u32_e32 v3, 0x1600, v152
	ds_write2_b64 v3, v[12:13], v[60:61] offset0:54 offset1:243
	v_add_u32_e32 v3, 0x2370, v152
	ds_write2_b64 v3, v[34:35], v[42:43] offset1:1
	v_add_u32_e32 v3, 0x2958, v152
	ds_write2_b64 v3, v[18:19], v[26:27] offset1:1
	v_add_u32_e32 v3, 0x2200, v152
	ds_write2_b64 v3, v[1:2], v[6:7] offset0:48 offset1:237
	s_and_saveexec_b64 s[2:3], vcc
	s_cbranch_execz .LBB0_19
; %bb.18:
	v_add_u32_e32 v1, 0x1d88, v0
	ds_write2_b64 v1, v[68:69], v[50:51] offset1:1
	ds_write_b64 v0, v[48:49] offset:7576
.LBB0_19:
	s_or_b64 exec, exec, s[2:3]
	v_add_u32_e32 v0, 0x1000, v149
	v_add_u32_e32 v1, 0x2000, v149
	s_waitcnt lgkmcnt(0)
	; wave barrier
	s_waitcnt lgkmcnt(0)
	ds_read2_b64 v[16:19], v149 offset1:63
	ds_read2_b64 v[40:43], v0 offset0:13 offset1:76
	ds_read2_b64 v[44:47], v1 offset0:26 offset1:89
	ds_read2_b64 v[12:15], v149 offset0:126 offset1:189
	ds_read2_b64 v[36:39], v0 offset0:139 offset1:202
	ds_read2_b64 v[32:35], v1 offset0:152 offset1:215
	v_add_u32_e32 v0, 0x400, v149
	ds_read2_b64 v[8:11], v0 offset0:124 offset1:187
	v_add_u32_e32 v0, 0x1800, v149
	v_add_u32_e32 v1, 0x2800, v149
	;; [unrolled: 1-line block ×3, first 2 shown]
	ds_read2_b64 v[28:31], v0 offset0:9 offset1:72
	ds_read2_b64 v[24:27], v1 offset0:22 offset1:85
	;; [unrolled: 1-line block ×5, first 2 shown]
	s_and_saveexec_b64 s[2:3], vcc
	s_cbranch_execz .LBB0_21
; %bb.20:
	ds_read_b64 v[68:69], v149 offset:4032
	ds_read_b64 v[50:51], v149 offset:8232
	ds_read_b64 v[48:49], v149 offset:12432
.LBB0_21:
	s_or_b64 exec, exec, s[2:3]
	s_movk_i32 s2, 0xab
	v_mul_lo_u16_sdwa v54, v148, s2 dst_sel:DWORD dst_unused:UNUSED_PAD src0_sel:BYTE_0 src1_sel:DWORD
	v_lshrrev_b16_e32 v214, 9, v54
	v_mul_lo_u16_e32 v54, 3, v214
	v_sub_u16_e32 v215, v148, v54
	v_mov_b32_e32 v66, 5
	v_add_u32_e32 v155, 63, v148
	v_lshlrev_b32_sdwa v62, v66, v215 dst_sel:DWORD dst_unused:UNUSED_PAD src0_sel:DWORD src1_sel:BYTE_0
	global_load_dwordx4 v[54:57], v62, s[8:9] offset:16
	global_load_dwordx4 v[58:61], v62, s[8:9]
	v_mul_lo_u16_sdwa v62, v155, s2 dst_sel:DWORD dst_unused:UNUSED_PAD src0_sel:BYTE_0 src1_sel:DWORD
	v_lshrrev_b16_e32 v216, 9, v62
	v_mul_lo_u16_e32 v62, 3, v216
	v_sub_u16_e32 v217, v155, v62
	v_add_u32_e32 v156, 0x7e, v148
	v_lshlrev_b32_sdwa v67, v66, v217 dst_sel:DWORD dst_unused:UNUSED_PAD src0_sel:DWORD src1_sel:BYTE_0
	global_load_dwordx4 v[62:65], v67, s[8:9] offset:16
	global_load_dwordx4 v[70:73], v67, s[8:9]
	v_mul_lo_u16_sdwa v67, v156, s2 dst_sel:DWORD dst_unused:UNUSED_PAD src0_sel:BYTE_0 src1_sel:DWORD
	v_lshrrev_b16_e32 v218, 9, v67
	v_mul_lo_u16_e32 v67, 3, v218
	v_sub_u16_e32 v219, v156, v67
	v_lshlrev_b32_sdwa v67, v66, v219 dst_sel:DWORD dst_unused:UNUSED_PAD src0_sel:DWORD src1_sel:BYTE_0
	global_load_dwordx4 v[74:77], v67, s[8:9] offset:16
	global_load_dwordx4 v[158:161], v67, s[8:9]
	v_add_u32_e32 v157, 0xbd, v148
	v_mul_lo_u16_sdwa v67, v157, s2 dst_sel:DWORD dst_unused:UNUSED_PAD src0_sel:BYTE_0 src1_sel:DWORD
	v_lshrrev_b16_e32 v220, 9, v67
	v_mul_lo_u16_e32 v67, 3, v220
	v_sub_u16_e32 v221, v157, v67
	v_add_u32_e32 v154, 0xfc, v148
	s_mov_b32 s2, 0xaaab
	v_lshlrev_b32_sdwa v66, v66, v221 dst_sel:DWORD dst_unused:UNUSED_PAD src0_sel:DWORD src1_sel:BYTE_0
	v_mul_u32_u24_sdwa v67, v154, s2 dst_sel:DWORD dst_unused:UNUSED_PAD src0_sel:WORD_0 src1_sel:DWORD
	global_load_dwordx4 v[162:165], v66, s[8:9]
	global_load_dwordx4 v[166:169], v66, s[8:9] offset:16
	v_lshrrev_b32_e32 v222, 17, v67
	v_mul_lo_u16_e32 v67, 3, v222
	v_sub_u16_e32 v223, v154, v67
	v_add_u32_e32 v66, 0x13b, v148
	v_lshlrev_b32_e32 v67, 5, v223
	global_load_dwordx4 v[170:173], v67, s[8:9] offset:16
	global_load_dwordx4 v[174:177], v67, s[8:9]
	v_mul_u32_u24_sdwa v67, v66, s2 dst_sel:DWORD dst_unused:UNUSED_PAD src0_sel:WORD_0 src1_sel:DWORD
	v_lshrrev_b32_e32 v224, 17, v67
	v_mul_lo_u16_e32 v67, 3, v224
	v_sub_u16_e32 v225, v66, v67
	v_lshlrev_b32_e32 v66, 5, v225
	global_load_dwordx4 v[178:181], v66, s[8:9]
	global_load_dwordx4 v[182:185], v66, s[8:9] offset:16
	v_add_u32_e32 v66, 0x17a, v148
	v_mul_u32_u24_sdwa v78, v66, s2 dst_sel:DWORD dst_unused:UNUSED_PAD src0_sel:WORD_0 src1_sel:DWORD
	v_lshrrev_b32_e32 v226, 17, v78
	v_mul_lo_u16_e32 v78, 3, v226
	v_sub_u16_e32 v227, v66, v78
	v_lshlrev_b32_e32 v66, 5, v227
	global_load_dwordx4 v[186:189], v66, s[8:9] offset:16
	global_load_dwordx4 v[190:193], v66, s[8:9]
	v_add_u32_e32 v67, 0x1b9, v148
	v_mul_u32_u24_sdwa v66, v67, s2 dst_sel:DWORD dst_unused:UNUSED_PAD src0_sel:WORD_0 src1_sel:DWORD
	v_lshrrev_b32_e32 v228, 17, v66
	v_mul_lo_u16_e32 v66, 3, v228
	v_sub_u16_e32 v229, v67, v66
	v_lshlrev_b32_e32 v66, 5, v229
	global_load_dwordx4 v[194:197], v66, s[8:9]
	global_load_dwordx4 v[198:201], v66, s[8:9] offset:16
	v_add_u32_e32 v66, 0x1f8, v148
	v_mul_u32_u24_sdwa v67, v66, s2 dst_sel:DWORD dst_unused:UNUSED_PAD src0_sel:WORD_0 src1_sel:DWORD
	v_lshrrev_b32_e32 v230, 17, v67
	v_mul_lo_u16_e32 v67, 3, v230
	v_sub_u16_e32 v231, v66, v67
	v_lshlrev_b32_e32 v66, 5, v231
	global_load_dwordx4 v[202:205], v66, s[8:9]
	global_load_dwordx4 v[206:209], v66, s[8:9] offset:16
	s_mov_b32 s2, 0xe8584caa
	s_mov_b32 s3, 0xbfebb67a
	;; [unrolled: 1-line block ×4, first 2 shown]
	s_waitcnt lgkmcnt(0)
	; wave barrier
	s_waitcnt vmcnt(17) lgkmcnt(0)
	v_mul_f64 v[78:79], v[44:45], v[56:57]
	s_waitcnt vmcnt(16)
	v_mul_f64 v[66:67], v[40:41], v[60:61]
	v_mul_f64 v[60:61], v[140:141], v[60:61]
	v_mul_f64 v[56:57], v[144:145], v[56:57]
	s_waitcnt vmcnt(15)
	v_mul_f64 v[90:91], v[46:47], v[64:65]
	s_waitcnt vmcnt(14)
	v_mul_f64 v[84:85], v[42:43], v[72:73]
	v_mul_f64 v[72:73], v[142:143], v[72:73]
	;; [unrolled: 1-line block ×3, first 2 shown]
	v_fma_f64 v[96:97], v[140:141], v[58:59], v[66:67]
	v_fma_f64 v[110:111], v[40:41], v[58:59], -v[60:61]
	s_waitcnt vmcnt(13)
	v_mul_f64 v[210:211], v[32:33], v[76:77]
	v_mul_f64 v[76:77], v[132:133], v[76:77]
	s_waitcnt vmcnt(12)
	v_mul_f64 v[152:153], v[36:37], v[160:161]
	v_mul_f64 v[160:161], v[136:137], v[160:161]
	v_fma_f64 v[140:141], v[42:43], v[70:71], -v[72:73]
	v_fma_f64 v[64:65], v[44:45], v[54:55], -v[56:57]
	v_fma_f64 v[106:107], v[142:143], v[70:71], v[84:85]
	v_fma_f64 v[118:119], v[146:147], v[62:63], v[90:91]
	v_fma_f64 v[70:71], v[46:47], v[62:63], -v[102:103]
	v_fma_f64 v[66:67], v[32:33], v[74:75], -v[76:77]
	s_waitcnt vmcnt(11)
	v_mul_f64 v[40:41], v[138:139], v[164:165]
	s_waitcnt vmcnt(10)
	v_mul_f64 v[32:33], v[134:135], v[168:169]
	v_mul_f64 v[212:213], v[38:39], v[164:165]
	v_fma_f64 v[102:103], v[36:37], v[158:159], -v[160:161]
	v_mul_f64 v[36:37], v[34:35], v[168:169]
	v_fma_f64 v[90:91], v[132:133], v[74:75], v[210:211]
	s_waitcnt vmcnt(9)
	v_mul_f64 v[58:59], v[124:125], v[172:173]
	s_waitcnt vmcnt(8)
	v_mul_f64 v[42:43], v[128:129], v[176:177]
	v_fma_f64 v[74:75], v[38:39], v[162:163], -v[40:41]
	v_mul_f64 v[38:39], v[28:29], v[176:177]
	v_fma_f64 v[44:45], v[34:35], v[166:167], -v[32:33]
	v_fma_f64 v[116:117], v[144:145], v[54:55], v[78:79]
	s_waitcnt vmcnt(7)
	v_mul_f64 v[32:33], v[130:131], v[180:181]
	v_mul_f64 v[60:61], v[30:31], v[180:181]
	v_fma_f64 v[62:63], v[134:135], v[166:167], v[36:37]
	v_fma_f64 v[54:55], v[28:29], v[174:175], -v[42:43]
	s_waitcnt vmcnt(6)
	v_mul_f64 v[28:29], v[26:27], v[184:185]
	v_mul_f64 v[36:37], v[24:25], v[172:173]
	v_fma_f64 v[40:41], v[128:129], v[174:175], v[38:39]
	v_fma_f64 v[38:39], v[24:25], v[170:171], -v[58:59]
	v_mul_f64 v[24:25], v[126:127], v[184:185]
	v_fma_f64 v[58:59], v[30:31], v[178:179], -v[32:33]
	s_waitcnt vmcnt(4)
	v_mul_f64 v[30:31], v[20:21], v[192:193]
	v_mul_f64 v[32:33], v[120:121], v[192:193]
	;; [unrolled: 1-line block ×3, first 2 shown]
	v_fma_f64 v[42:43], v[130:131], v[178:179], v[60:61]
	v_fma_f64 v[60:61], v[126:127], v[182:183], v[28:29]
	v_mul_f64 v[28:29], v[0:1], v[188:189]
	v_fma_f64 v[56:57], v[124:125], v[170:171], v[36:37]
	s_waitcnt vmcnt(3)
	v_mul_f64 v[72:73], v[22:23], v[196:197]
	v_fma_f64 v[36:37], v[26:27], v[182:183], -v[24:25]
	v_mul_f64 v[76:77], v[122:123], v[196:197]
	v_fma_f64 v[26:27], v[120:121], v[190:191], v[30:31]
	v_fma_f64 v[30:31], v[20:21], v[190:191], -v[32:33]
	s_waitcnt vmcnt(2)
	v_mul_f64 v[20:21], v[2:3], v[200:201]
	v_fma_f64 v[24:25], v[0:1], v[186:187], -v[34:35]
	v_mul_f64 v[0:1], v[114:115], v[200:201]
	v_fma_f64 v[32:33], v[112:113], v[186:187], v[28:29]
	v_add_f64 v[112:113], v[96:97], v[116:117]
	v_fma_f64 v[28:29], v[122:123], v[194:195], v[72:73]
	v_fma_f64 v[34:35], v[22:23], v[194:195], -v[76:77]
	s_waitcnt vmcnt(1)
	v_mul_f64 v[22:23], v[50:51], v[204:205]
	v_fma_f64 v[76:77], v[114:115], v[198:199], v[20:21]
	v_mul_f64 v[20:21], v[108:109], v[204:205]
	s_waitcnt vmcnt(0)
	v_mul_f64 v[114:115], v[48:49], v[208:209]
	v_mul_f64 v[120:121], v[104:105], v[208:209]
	v_fma_f64 v[72:73], v[2:3], v[198:199], -v[0:1]
	v_add_f64 v[0:1], v[98:99], v[96:97]
	v_fma_f64 v[84:85], v[136:137], v[158:159], v[152:153]
	v_fma_f64 v[2:3], v[112:113], -0.5, v[98:99]
	v_add_f64 v[98:99], v[110:111], -v[64:65]
	v_fma_f64 v[46:47], v[138:139], v[162:163], v[212:213]
	v_fma_f64 v[78:79], v[108:109], v[202:203], v[22:23]
	v_fma_f64 v[20:21], v[50:51], v[202:203], -v[20:21]
	v_fma_f64 v[50:51], v[104:105], v[206:207], v[114:115]
	v_fma_f64 v[22:23], v[48:49], v[206:207], -v[120:121]
	v_add_f64 v[48:49], v[106:107], v[118:119]
	v_add_f64 v[104:105], v[0:1], v[116:117]
	;; [unrolled: 1-line block ×3, first 2 shown]
	v_fma_f64 v[108:109], v[98:99], s[2:3], v[2:3]
	v_fma_f64 v[98:99], v[98:99], s[4:5], v[2:3]
	v_add_f64 v[2:3], v[92:93], v[84:85]
	v_add_f64 v[112:113], v[84:85], v[90:91]
	;; [unrolled: 1-line block ×3, first 2 shown]
	v_fma_f64 v[48:49], v[48:49], -0.5, v[100:101]
	v_add_f64 v[100:101], v[140:141], -v[70:71]
	v_add_f64 v[114:115], v[0:1], v[118:119]
	v_add_f64 v[0:1], v[46:47], v[62:63]
	;; [unrolled: 1-line block ×5, first 2 shown]
	v_fma_f64 v[92:93], v[112:113], -0.5, v[92:93]
	v_add_f64 v[112:113], v[102:103], -v[66:67]
	v_fma_f64 v[120:121], v[100:101], s[2:3], v[48:49]
	v_fma_f64 v[48:49], v[100:101], s[4:5], v[48:49]
	v_add_f64 v[100:101], v[94:95], v[46:47]
	v_fma_f64 v[0:1], v[0:1], -0.5, v[94:95]
	v_add_f64 v[94:95], v[74:75], -v[44:45]
	v_fma_f64 v[2:3], v[2:3], -0.5, v[86:87]
	v_add_f64 v[86:87], v[54:55], -v[38:39]
	v_fma_f64 v[124:125], v[112:113], s[2:3], v[92:93]
	v_fma_f64 v[92:93], v[112:113], s[4:5], v[92:93]
	v_add_f64 v[112:113], v[42:43], v[60:61]
	v_add_f64 v[142:143], v[82:83], v[28:29]
	v_add_f64 v[146:147], v[20:21], -v[22:23]
	v_fma_f64 v[128:129], v[94:95], s[2:3], v[0:1]
	v_fma_f64 v[94:95], v[94:95], s[4:5], v[0:1]
	v_add_f64 v[0:1], v[88:89], v[42:43]
	v_fma_f64 v[132:133], v[86:87], s[2:3], v[2:3]
	v_fma_f64 v[134:135], v[86:87], s[4:5], v[2:3]
	v_add_f64 v[2:3], v[28:29], v[76:77]
	v_add_f64 v[86:87], v[80:81], v[26:27]
	v_fma_f64 v[80:81], v[130:131], -0.5, v[80:81]
	v_add_f64 v[130:131], v[30:31], -v[24:25]
	v_fma_f64 v[88:89], v[112:113], -0.5, v[88:89]
	v_add_f64 v[136:137], v[0:1], v[60:61]
	v_add_f64 v[0:1], v[78:79], v[50:51]
	v_add_f64 v[112:113], v[58:59], -v[36:37]
	v_fma_f64 v[2:3], v[2:3], -0.5, v[82:83]
	v_add_f64 v[82:83], v[34:35], -v[72:73]
	v_add_f64 v[100:101], v[100:101], v[62:63]
	v_fma_f64 v[152:153], v[130:131], s[2:3], v[80:81]
	v_fma_f64 v[130:131], v[130:131], s[4:5], v[80:81]
	v_mul_u32_u24_e32 v80, 0x48, v214
	v_fma_f64 v[144:145], v[0:1], -0.5, v[52:53]
	v_add_f64 v[126:127], v[126:127], v[56:57]
	v_fma_f64 v[138:139], v[112:113], s[2:3], v[88:89]
	v_fma_f64 v[158:159], v[82:83], s[2:3], v[2:3]
	v_fma_f64 v[160:161], v[82:83], s[4:5], v[2:3]
	v_mov_b32_e32 v83, 3
	v_lshlrev_b32_sdwa v81, v83, v215 dst_sel:DWORD dst_unused:UNUSED_PAD src0_sel:DWORD src1_sel:BYTE_0
	v_add3_u32 v80, 0, v80, v81
	v_mul_u32_u24_e32 v81, 0x48, v216
	v_lshlrev_b32_sdwa v82, v83, v217 dst_sel:DWORD dst_unused:UNUSED_PAD src0_sel:DWORD src1_sel:BYTE_0
	v_fma_f64 v[88:89], v[112:113], s[4:5], v[88:89]
	v_add_f64 v[112:113], v[86:87], v[32:33]
	v_add_f64 v[142:143], v[142:143], v[76:77]
	v_fma_f64 v[0:1], v[146:147], s[2:3], v[144:145]
	v_fma_f64 v[2:3], v[146:147], s[4:5], v[144:145]
	v_add3_u32 v81, 0, v81, v82
	ds_write2_b64 v80, v[104:105], v[108:109] offset1:3
	ds_write_b64 v80, v[98:99] offset:48
	ds_write2_b64 v81, v[114:115], v[120:121] offset1:3
	ds_write_b64 v81, v[48:49] offset:48
	v_mul_u32_u24_e32 v48, 0x48, v218
	v_lshlrev_b32_sdwa v49, v83, v219 dst_sel:DWORD dst_unused:UNUSED_PAD src0_sel:DWORD src1_sel:BYTE_0
	v_add3_u32 v82, 0, v48, v49
	v_mul_u32_u24_e32 v48, 0x48, v220
	v_lshlrev_b32_sdwa v49, v83, v221 dst_sel:DWORD dst_unused:UNUSED_PAD src0_sel:DWORD src1_sel:BYTE_0
	v_add3_u32 v83, 0, v48, v49
	v_mul_u32_u24_e32 v48, 0x48, v222
	v_lshlrev_b32_e32 v49, 3, v223
	v_add3_u32 v86, 0, v48, v49
	v_mul_u32_u24_e32 v48, 0x48, v224
	v_lshlrev_b32_e32 v49, 3, v225
	v_add3_u32 v87, 0, v48, v49
	v_mul_u32_u24_e32 v48, 0x48, v226
	v_lshlrev_b32_e32 v49, 3, v227
	ds_write2_b64 v82, v[122:123], v[124:125] offset1:3
	ds_write_b64 v82, v[92:93] offset:48
	v_add3_u32 v92, 0, v48, v49
	v_mul_u32_u24_e32 v48, 0x48, v228
	v_lshlrev_b32_e32 v49, 3, v229
	ds_write2_b64 v83, v[100:101], v[128:129] offset1:3
	ds_write_b64 v83, v[94:95] offset:48
	ds_write2_b64 v86, v[126:127], v[132:133] offset1:3
	ds_write_b64 v86, v[134:135] offset:48
	;; [unrolled: 2-line block ×3, first 2 shown]
	v_add3_u32 v93, 0, v48, v49
	v_mul_lo_u16_e32 v88, 9, v230
	v_lshlrev_b32_e32 v89, 3, v231
	ds_write2_b64 v92, v[112:113], v[152:153] offset1:3
	ds_write_b64 v92, v[130:131] offset:48
	ds_write2_b64 v93, v[142:143], v[158:159] offset1:3
	ds_write_b64 v93, v[160:161] offset:48
	s_and_saveexec_b64 s[6:7], vcc
	s_cbranch_execz .LBB0_23
; %bb.22:
	v_add_f64 v[48:49], v[52:53], v[78:79]
	v_lshlrev_b32_e32 v52, 3, v88
	v_add3_u32 v52, 0, v89, v52
	v_add_f64 v[48:49], v[48:49], v[50:51]
	ds_write2_b64 v52, v[48:49], v[0:1] offset1:3
	ds_write_b64 v52, v[2:3] offset:48
.LBB0_23:
	s_or_b64 exec, exec, s[6:7]
	v_add_f64 v[48:49], v[110:111], v[64:65]
	v_add_f64 v[52:53], v[140:141], v[70:71]
	;; [unrolled: 1-line block ×3, first 2 shown]
	v_add_f64 v[96:97], v[96:97], -v[116:117]
	v_add_f64 v[98:99], v[18:19], v[140:141]
	v_add_f64 v[100:101], v[106:107], -v[118:119]
	v_add_f64 v[104:105], v[102:103], v[66:67]
	v_add_f64 v[46:47], v[46:47], -v[62:63]
	v_fma_f64 v[16:17], v[48:49], -0.5, v[16:17]
	v_fma_f64 v[18:19], v[52:53], -0.5, v[18:19]
	v_add_f64 v[48:49], v[12:13], v[102:103]
	v_add_f64 v[52:53], v[84:85], -v[90:91]
	v_add_f64 v[90:91], v[94:95], v[64:65]
	v_add_f64 v[94:95], v[98:99], v[70:71]
	;; [unrolled: 1-line block ×3, first 2 shown]
	v_fma_f64 v[12:13], v[104:105], -0.5, v[12:13]
	v_fma_f64 v[98:99], v[96:97], s[4:5], v[16:17]
	v_fma_f64 v[96:97], v[96:97], s[2:3], v[16:17]
	;; [unrolled: 1-line block ×4, first 2 shown]
	v_add_f64 v[16:17], v[14:15], v[74:75]
	v_add_f64 v[18:19], v[54:55], v[38:39]
	v_fma_f64 v[14:15], v[84:85], -0.5, v[14:15]
	v_fma_f64 v[84:85], v[52:53], s[4:5], v[12:13]
	v_fma_f64 v[110:111], v[52:53], s[2:3], v[12:13]
	v_add_f64 v[12:13], v[58:59], v[36:37]
	v_add_u32_e32 v104, 0x1000, v149
	v_add_u32_e32 v105, 0x1800, v149
	v_add_f64 v[112:113], v[16:17], v[44:45]
	v_add_f64 v[16:17], v[8:9], v[54:55]
	v_fma_f64 v[8:9], v[18:19], -0.5, v[8:9]
	v_add_f64 v[18:19], v[40:41], -v[56:57]
	v_add_f64 v[40:41], v[10:11], v[58:59]
	v_fma_f64 v[10:11], v[12:13], -0.5, v[10:11]
	v_add_f64 v[12:13], v[42:43], -v[60:61]
	v_add_u32_e32 v71, 0x2400, v149
	v_add_u32_e32 v106, 0x800, v149
	v_add_f64 v[116:117], v[16:17], v[38:39]
	v_add_f64 v[16:17], v[30:31], v[24:25]
	v_fma_f64 v[118:119], v[18:19], s[4:5], v[8:9]
	v_fma_f64 v[120:121], v[18:19], s[2:3], v[8:9]
	v_add_f64 v[8:9], v[34:35], v[72:73]
	v_add_f64 v[18:19], v[20:21], v[22:23]
	v_add_f64 v[30:31], v[4:5], v[30:31]
	v_fma_f64 v[124:125], v[12:13], s[4:5], v[10:11]
	v_add_u32_e32 v70, 0x1c00, v149
	v_fma_f64 v[4:5], v[16:17], -0.5, v[4:5]
	v_add_f64 v[16:17], v[26:27], -v[32:33]
	v_add_f64 v[26:27], v[6:7], v[34:35]
	v_fma_f64 v[6:7], v[8:9], -0.5, v[6:7]
	v_add_f64 v[8:9], v[28:29], -v[76:77]
	v_fma_f64 v[18:19], v[18:19], -0.5, v[68:69]
	v_add_f64 v[28:29], v[78:79], -v[50:51]
	v_fma_f64 v[76:77], v[12:13], s[2:3], v[10:11]
	v_add_u32_e32 v12, 0x400, v149
	v_fma_f64 v[78:79], v[16:17], s[4:5], v[4:5]
	v_fma_f64 v[126:127], v[16:17], s[2:3], v[4:5]
	v_add_u32_e32 v107, 0x1400, v149
	v_fma_f64 v[128:129], v[8:9], s[4:5], v[6:7]
	v_fma_f64 v[130:131], v[8:9], s[2:3], v[6:7]
	;; [unrolled: 1-line block ×4, first 2 shown]
	v_add_u32_e32 v158, 0x2800, v149
	v_add_u32_e32 v160, 0xc00, v149
	;; [unrolled: 1-line block ×3, first 2 shown]
	v_add_f64 v[74:75], v[48:49], v[66:67]
	v_fma_f64 v[114:115], v[46:47], s[4:5], v[14:15]
	v_fma_f64 v[14:15], v[46:47], s[2:3], v[14:15]
	v_add_f64 v[122:123], v[40:41], v[36:37]
	v_add_f64 v[30:31], v[30:31], v[24:25]
	;; [unrolled: 1-line block ×3, first 2 shown]
	s_waitcnt lgkmcnt(0)
	; wave barrier
	s_waitcnt lgkmcnt(0)
	ds_read2_b64 v[24:27], v149 offset1:63
	ds_read2_b64 v[8:11], v12 offset0:124 offset1:187
	ds_read2_b64 v[60:63], v104 offset0:118 offset1:181
	;; [unrolled: 1-line block ×11, first 2 shown]
	ds_read_b64 v[100:101], v149 offset:12096
	s_waitcnt lgkmcnt(0)
	; wave barrier
	s_waitcnt lgkmcnt(0)
	ds_write2_b64 v80, v[90:91], v[98:99] offset1:3
	ds_write_b64 v80, v[96:97] offset:48
	ds_write2_b64 v81, v[94:95], v[102:103] offset1:3
	ds_write_b64 v81, v[108:109] offset:48
	;; [unrolled: 2-line block ×8, first 2 shown]
	s_and_saveexec_b64 s[2:3], vcc
	s_cbranch_execz .LBB0_25
; %bb.24:
	v_add_f64 v[13:14], v[68:69], v[20:21]
	v_lshlrev_b32_e32 v15, 3, v88
	v_add3_u32 v15, 0, v89, v15
	v_add_f64 v[13:14], v[13:14], v[22:23]
	ds_write2_b64 v15, v[13:14], v[4:5] offset1:3
	ds_write_b64 v15, v[6:7] offset:48
.LBB0_25:
	s_or_b64 exec, exec, s[2:3]
	v_mov_b32_e32 v13, 57
	v_mul_lo_u16_sdwa v14, v148, v13 dst_sel:DWORD dst_unused:UNUSED_PAD src0_sel:BYTE_0 src1_sel:DWORD
	v_lshrrev_b16_e32 v161, 9, v14
	v_mul_lo_u16_e32 v14, 9, v161
	v_sub_u16_e32 v162, v148, v14
	v_mov_b32_e32 v14, 6
	v_lshlrev_b32_sdwa v15, v14, v162 dst_sel:DWORD dst_unused:UNUSED_PAD src0_sel:DWORD src1_sel:BYTE_0
	s_waitcnt lgkmcnt(0)
	; wave barrier
	s_waitcnt lgkmcnt(0)
	global_load_dwordx4 v[72:75], v15, s[8:9] offset:112
	global_load_dwordx4 v[76:79], v15, s[8:9] offset:96
	global_load_dwordx4 v[80:83], v15, s[8:9] offset:144
	global_load_dwordx4 v[84:87], v15, s[8:9] offset:128
	v_mul_lo_u16_sdwa v15, v155, v13 dst_sel:DWORD dst_unused:UNUSED_PAD src0_sel:BYTE_0 src1_sel:DWORD
	v_lshrrev_b16_e32 v163, 9, v15
	v_mul_lo_u16_e32 v15, 9, v163
	v_sub_u16_e32 v164, v155, v15
	v_lshlrev_b32_sdwa v15, v14, v164 dst_sel:DWORD dst_unused:UNUSED_PAD src0_sel:DWORD src1_sel:BYTE_0
	global_load_dwordx4 v[88:91], v15, s[8:9] offset:112
	global_load_dwordx4 v[92:95], v15, s[8:9] offset:96
	global_load_dwordx4 v[96:99], v15, s[8:9] offset:144
	global_load_dwordx4 v[108:111], v15, s[8:9] offset:128
	v_mul_lo_u16_sdwa v15, v156, v13 dst_sel:DWORD dst_unused:UNUSED_PAD src0_sel:BYTE_0 src1_sel:DWORD
	v_lshrrev_b16_e32 v165, 9, v15
	v_mul_lo_u16_e32 v15, 9, v165
	v_sub_u16_e32 v166, v156, v15
	v_lshlrev_b32_sdwa v15, v14, v166 dst_sel:DWORD dst_unused:UNUSED_PAD src0_sel:DWORD src1_sel:BYTE_0
	;; [unrolled: 9-line block ×3, first 2 shown]
	global_load_dwordx4 v[179:182], v13, s[8:9] offset:96
	global_load_dwordx4 v[183:186], v13, s[8:9] offset:112
	;; [unrolled: 1-line block ×4, first 2 shown]
	s_mov_b32 s2, 0xe38f
	v_mul_u32_u24_sdwa v13, v154, s2 dst_sel:DWORD dst_unused:UNUSED_PAD src0_sel:WORD_0 src1_sel:DWORD
	v_lshrrev_b32_e32 v247, 19, v13
	v_mul_lo_u16_e32 v13, 9, v247
	v_sub_u16_e32 v248, v154, v13
	v_lshlrev_b32_e32 v20, 6, v248
	global_load_dwordx4 v[195:198], v20, s[8:9] offset:96
	global_load_dwordx4 v[199:202], v20, s[8:9] offset:112
	ds_read2_b64 v[28:31], v149 offset1:63
	ds_read2_b64 v[12:15], v12 offset0:124 offset1:187
	ds_read2_b64 v[112:115], v104 offset0:118 offset1:181
	;; [unrolled: 1-line block ×4, first 2 shown]
	global_load_dwordx4 v[207:210], v20, s[8:9] offset:144
	global_load_dwordx4 v[211:214], v20, s[8:9] offset:128
	ds_read2_b64 v[215:218], v106 offset0:122 offset1:185
	ds_read2_b64 v[68:71], v70 offset0:112 offset1:175
	;; [unrolled: 1-line block ×7, first 2 shown]
	ds_read_b64 v[235:236], v149 offset:12096
	s_mov_b32 s2, 0x134454ff
	s_mov_b32 s3, 0xbfee6f0e
	s_mov_b32 s6, 0x4755a5e
	s_mov_b32 s7, 0xbfe2cf23
	s_mov_b32 s11, 0x3fee6f0e
	s_mov_b32 s10, s2
	s_mov_b32 s15, 0x3fe2cf23
	s_mov_b32 s14, s6
	s_mov_b32 s4, 0x372fe950
	s_mov_b32 s5, 0x3fd3c6ef
	s_waitcnt lgkmcnt(0)
	; wave barrier
	s_waitcnt lgkmcnt(0)
	v_cmp_gt_u32_e32 vcc, 36, v148
	s_waitcnt vmcnt(19)
	v_mul_f64 v[124:125], v[112:113], v[74:75]
	s_waitcnt vmcnt(18)
	v_mul_f64 v[102:103], v[14:15], v[78:79]
	v_mul_f64 v[78:79], v[10:11], v[78:79]
	s_waitcnt vmcnt(16)
	v_mul_f64 v[126:127], v[205:206], v[86:87]
	v_mul_f64 v[128:129], v[116:117], v[82:83]
	;; [unrolled: 1-line block ×4, first 2 shown]
	s_waitcnt vmcnt(14)
	v_mul_f64 v[130:131], v[215:216], v[94:95]
	s_waitcnt vmcnt(13)
	v_mul_f64 v[241:242], v[118:119], v[98:99]
	v_fma_f64 v[146:147], v[10:11], v[76:77], v[102:103]
	s_waitcnt vmcnt(12)
	v_mul_f64 v[237:238], v[68:69], v[110:111]
	v_mul_f64 v[98:99], v[66:67], v[98:99]
	s_waitcnt vmcnt(11)
	v_mul_f64 v[10:11], v[58:59], v[122:123]
	v_mul_f64 v[243:244], v[217:218], v[122:123]
	v_fma_f64 v[140:141], v[14:15], v[76:77], -v[78:79]
	v_fma_f64 v[144:145], v[34:35], v[84:85], v[126:127]
	v_fma_f64 v[152:153], v[64:65], v[80:81], v[128:129]
	v_fma_f64 v[128:129], v[116:117], v[80:81], -v[82:83]
	s_waitcnt vmcnt(10)
	v_mul_f64 v[14:15], v[219:220], v[169:170]
	v_mul_f64 v[34:35], v[48:49], v[169:170]
	v_fma_f64 v[80:81], v[217:218], v[120:121], -v[10:11]
	s_waitcnt vmcnt(7)
	v_mul_f64 v[10:11], v[227:228], v[181:182]
	v_mul_f64 v[74:75], v[60:61], v[74:75]
	;; [unrolled: 1-line block ×6, first 2 shown]
	v_fma_f64 v[142:143], v[60:61], v[72:73], v[124:125]
	v_fma_f64 v[136:137], v[56:57], v[92:93], v[130:131]
	;; [unrolled: 1-line block ×3, first 2 shown]
	v_fma_f64 v[116:117], v[118:119], v[96:97], -v[98:99]
	v_mul_f64 v[52:53], v[70:71], v[173:174]
	v_fma_f64 v[118:119], v[58:59], v[120:121], v[243:244]
	v_mul_f64 v[58:59], v[223:224], v[177:178]
	v_fma_f64 v[102:103], v[48:49], v[167:168], v[14:15]
	v_fma_f64 v[82:83], v[219:220], v[167:168], -v[34:35]
	v_mul_f64 v[14:15], v[40:41], v[181:182]
	s_waitcnt vmcnt(6)
	v_mul_f64 v[34:35], v[221:222], v[185:186]
	s_waitcnt vmcnt(5)
	v_mul_f64 v[48:49], v[231:232], v[189:190]
	v_fma_f64 v[98:99], v[40:41], v[179:180], v[10:11]
	s_waitcnt vmcnt(4)
	v_mul_f64 v[10:11], v[225:226], v[193:194]
	v_mul_f64 v[40:41], v[46:47], v[193:194]
	v_fma_f64 v[134:135], v[112:113], v[72:73], -v[74:75]
	v_fma_f64 v[110:111], v[215:216], v[92:93], -v[94:95]
	v_fma_f64 v[126:127], v[62:63], v[88:89], v[138:139]
	v_fma_f64 v[112:113], v[114:115], v[88:89], -v[90:91]
	v_fma_f64 v[114:115], v[68:69], v[108:109], -v[239:240]
	v_fma_f64 v[138:139], v[66:67], v[96:97], v[241:242]
	v_mul_f64 v[56:57], v[54:55], v[173:174]
	v_mul_f64 v[60:61], v[44:45], v[177:178]
	v_fma_f64 v[108:109], v[54:55], v[171:172], v[52:53]
	v_fma_f64 v[124:125], v[44:45], v[175:176], v[58:59]
	v_mul_f64 v[44:45], v[50:51], v[185:186]
	v_mul_f64 v[52:53], v[36:37], v[189:190]
	v_fma_f64 v[94:95], v[50:51], v[183:184], v[34:35]
	v_fma_f64 v[96:97], v[36:37], v[187:188], v[48:49]
	s_waitcnt vmcnt(3)
	v_mul_f64 v[34:35], v[229:230], v[197:198]
	v_fma_f64 v[120:121], v[46:47], v[191:192], v[10:11]
	v_fma_f64 v[72:73], v[225:226], v[191:192], -v[40:41]
	v_mul_f64 v[10:11], v[42:43], v[197:198]
	s_waitcnt vmcnt(2)
	v_mul_f64 v[36:37], v[203:204], v[201:202]
	v_add_f64 v[40:41], v[24:25], v[146:147]
	v_add_f64 v[46:47], v[142:143], v[144:145]
	v_fma_f64 v[132:133], v[205:206], v[84:85], -v[86:87]
	v_fma_f64 v[84:85], v[70:71], v[171:172], -v[56:57]
	;; [unrolled: 1-line block ×3, first 2 shown]
	v_mul_f64 v[44:45], v[32:33], v[201:202]
	v_fma_f64 v[86:87], v[42:43], v[195:196], v[34:35]
	s_waitcnt vmcnt(0)
	v_mul_f64 v[34:35], v[233:234], v[213:214]
	v_mul_f64 v[42:43], v[38:39], v[213:214]
	v_fma_f64 v[74:75], v[229:230], v[195:196], -v[10:11]
	v_fma_f64 v[88:89], v[32:33], v[199:200], v[36:37]
	v_add_f64 v[10:11], v[40:41], v[142:143]
	v_fma_f64 v[32:33], v[46:47], -0.5, v[24:25]
	v_add_f64 v[36:37], v[140:141], -v[128:129]
	v_add_f64 v[48:49], v[146:147], v[152:153]
	v_fma_f64 v[92:93], v[38:39], v[211:212], v[34:35]
	v_fma_f64 v[76:77], v[233:234], v[211:212], -v[42:43]
	v_mul_f64 v[34:35], v[235:236], v[209:210]
	v_mul_f64 v[38:39], v[100:101], v[209:210]
	v_add_f64 v[10:11], v[10:11], v[144:145]
	v_add_f64 v[42:43], v[134:135], -v[132:133]
	v_fma_f64 v[40:41], v[36:37], s[2:3], v[32:33]
	v_fma_f64 v[78:79], v[203:204], v[199:200], -v[44:45]
	v_add_f64 v[44:45], v[146:147], -v[142:143]
	v_add_f64 v[46:47], v[152:153], -v[144:145]
	v_fma_f64 v[122:123], v[100:101], v[207:208], v[34:35]
	v_fma_f64 v[100:101], v[235:236], v[207:208], -v[38:39]
	v_add_f64 v[38:39], v[10:11], v[152:153]
	v_fma_f64 v[24:25], v[48:49], -0.5, v[24:25]
	v_fma_f64 v[10:11], v[42:43], s[6:7], v[40:41]
	v_add_f64 v[40:41], v[26:27], v[136:137]
	v_fma_f64 v[32:33], v[36:37], s[10:11], v[32:33]
	v_add_f64 v[34:35], v[44:45], v[46:47]
	v_add_f64 v[44:45], v[126:127], v[130:131]
	v_add_f64 v[48:49], v[142:143], -v[146:147]
	v_add_f64 v[50:51], v[144:145], -v[152:153]
	v_fma_f64 v[46:47], v[42:43], s[10:11], v[24:25]
	v_fma_f64 v[24:25], v[42:43], s[2:3], v[24:25]
	v_add_f64 v[40:41], v[40:41], v[126:127]
	v_fma_f64 v[32:33], v[42:43], s[14:15], v[32:33]
	v_fma_f64 v[68:69], v[227:228], v[179:180], -v[14:15]
	v_fma_f64 v[42:43], v[44:45], -0.5, v[26:27]
	v_add_f64 v[44:45], v[110:111], -v[116:117]
	v_add_f64 v[48:49], v[48:49], v[50:51]
	v_fma_f64 v[46:47], v[36:37], s[6:7], v[46:47]
	v_fma_f64 v[24:25], v[36:37], s[14:15], v[24:25]
	v_add_f64 v[36:37], v[136:137], v[138:139]
	v_add_f64 v[40:41], v[40:41], v[130:131]
	v_fma_f64 v[14:15], v[231:232], v[187:188], -v[52:53]
	v_fma_f64 v[50:51], v[34:35], s[4:5], v[10:11]
	v_fma_f64 v[52:53], v[34:35], s[4:5], v[32:33]
	;; [unrolled: 1-line block ×3, first 2 shown]
	v_add_f64 v[32:33], v[112:113], -v[114:115]
	v_fma_f64 v[46:47], v[48:49], s[4:5], v[46:47]
	v_fma_f64 v[24:25], v[48:49], s[4:5], v[24:25]
	v_fma_f64 v[26:27], v[36:37], -0.5, v[26:27]
	v_add_f64 v[36:37], v[40:41], v[138:139]
	v_add_f64 v[34:35], v[136:137], -v[126:127]
	v_add_f64 v[40:41], v[138:139], -v[130:131]
	v_fma_f64 v[42:43], v[44:45], s[10:11], v[42:43]
	v_add_f64 v[48:49], v[16:17], v[118:119]
	v_fma_f64 v[90:91], v[223:224], v[175:176], -v[60:61]
	v_fma_f64 v[10:11], v[32:33], s[6:7], v[10:11]
	v_add_f64 v[54:55], v[102:103], v[108:109]
	v_fma_f64 v[56:57], v[32:33], s[10:11], v[26:27]
	v_add_f64 v[58:59], v[126:127], -v[136:137]
	v_add_f64 v[60:61], v[130:131], -v[138:139]
	v_add_f64 v[34:35], v[34:35], v[40:41]
	v_fma_f64 v[40:41], v[32:33], s[14:15], v[42:43]
	v_fma_f64 v[26:27], v[32:33], s[2:3], v[26:27]
	v_add_f64 v[32:33], v[48:49], v[102:103]
	v_fma_f64 v[42:43], v[54:55], -0.5, v[16:17]
	v_fma_f64 v[54:55], v[44:45], s[6:7], v[56:57]
	v_add_f64 v[48:49], v[80:81], -v[90:91]
	v_add_f64 v[56:57], v[58:59], v[60:61]
	v_fma_f64 v[58:59], v[34:35], s[4:5], v[10:11]
	v_add_f64 v[62:63], v[118:119], -v[102:103]
	v_fma_f64 v[10:11], v[44:45], s[14:15], v[26:27]
	v_add_f64 v[26:27], v[32:33], v[108:109]
	v_add_f64 v[32:33], v[118:119], v[124:125]
	v_add_f64 v[44:45], v[82:83], -v[84:85]
	v_add_f64 v[64:65], v[124:125], -v[108:109]
	v_fma_f64 v[54:55], v[56:57], s[4:5], v[54:55]
	v_fma_f64 v[40:41], v[34:35], s[4:5], v[40:41]
	;; [unrolled: 1-line block ×4, first 2 shown]
	v_add_f64 v[60:61], v[94:95], v[96:97]
	v_fma_f64 v[10:11], v[32:33], -0.5, v[16:17]
	v_add_f64 v[32:33], v[18:19], v[98:99]
	v_add_f64 v[62:63], v[62:63], v[64:65]
	v_fma_f64 v[42:43], v[48:49], s[10:11], v[42:43]
	v_add_f64 v[66:67], v[102:103], -v[118:119]
	v_add_f64 v[167:168], v[108:109], -v[124:125]
	v_add_f64 v[16:17], v[26:27], v[124:125]
	v_fma_f64 v[26:27], v[44:45], s[6:7], v[34:35]
	v_fma_f64 v[64:65], v[44:45], s[10:11], v[10:11]
	;; [unrolled: 1-line block ×3, first 2 shown]
	v_fma_f64 v[34:35], v[60:61], -0.5, v[18:19]
	v_add_f64 v[60:61], v[68:69], -v[72:73]
	v_add_f64 v[32:33], v[32:33], v[94:95]
	v_fma_f64 v[42:43], v[44:45], s[14:15], v[42:43]
	v_add_f64 v[66:67], v[66:67], v[167:168]
	v_add_f64 v[171:172], v[70:71], -v[14:15]
	v_add_f64 v[44:45], v[98:99], v[120:121]
	v_fma_f64 v[10:11], v[48:49], s[14:15], v[10:11]
	v_add_f64 v[173:174], v[98:99], -v[94:95]
	v_fma_f64 v[169:170], v[60:61], s[2:3], v[34:35]
	v_add_f64 v[175:176], v[120:121], -v[96:97]
	v_fma_f64 v[64:65], v[48:49], s[6:7], v[64:65]
	v_add_f64 v[32:33], v[32:33], v[96:97]
	v_fma_f64 v[26:27], v[62:63], s[4:5], v[26:27]
	v_fma_f64 v[42:43], v[62:63], s[4:5], v[42:43]
	;; [unrolled: 1-line block ×3, first 2 shown]
	v_add_f64 v[10:11], v[88:89], v[92:93]
	v_fma_f64 v[48:49], v[171:172], s[6:7], v[169:170]
	v_add_f64 v[169:170], v[86:87], v[122:123]
	v_fma_f64 v[18:19], v[44:45], -0.5, v[18:19]
	v_add_f64 v[167:168], v[173:174], v[175:176]
	v_fma_f64 v[44:45], v[66:67], s[4:5], v[64:65]
	v_add_f64 v[64:65], v[32:33], v[120:121]
	v_fma_f64 v[32:33], v[60:61], s[10:11], v[34:35]
	v_add_f64 v[66:67], v[94:95], -v[98:99]
	v_add_f64 v[173:174], v[96:97], -v[120:121]
	v_add_f64 v[175:176], v[8:9], v[86:87]
	v_fma_f64 v[10:11], v[10:11], -0.5, v[8:9]
	v_add_f64 v[177:178], v[74:75], -v[100:101]
	v_add_f64 v[179:180], v[78:79], -v[76:77]
	v_fma_f64 v[8:9], v[169:170], -0.5, v[8:9]
	v_fma_f64 v[34:35], v[171:172], s[10:11], v[18:19]
	v_fma_f64 v[18:19], v[171:172], s[2:3], v[18:19]
	;; [unrolled: 1-line block ×3, first 2 shown]
	v_add_f64 v[66:67], v[66:67], v[173:174]
	v_add_f64 v[169:170], v[175:176], v[88:89]
	v_fma_f64 v[171:172], v[177:178], s[2:3], v[10:11]
	v_add_f64 v[173:174], v[86:87], -v[88:89]
	v_add_f64 v[175:176], v[122:123], -v[92:93]
	v_fma_f64 v[10:11], v[177:178], s[10:11], v[10:11]
	v_fma_f64 v[181:182], v[179:180], s[10:11], v[8:9]
	v_add_f64 v[183:184], v[88:89], -v[86:87]
	v_add_f64 v[185:186], v[92:93], -v[122:123]
	v_fma_f64 v[8:9], v[179:180], s[2:3], v[8:9]
	v_fma_f64 v[34:35], v[60:61], s[6:7], v[34:35]
	;; [unrolled: 1-line block ×3, first 2 shown]
	v_add_f64 v[60:61], v[169:170], v[92:93]
	v_fma_f64 v[169:170], v[179:180], s[6:7], v[171:172]
	v_add_f64 v[171:172], v[173:174], v[175:176]
	v_fma_f64 v[10:11], v[179:180], s[14:15], v[10:11]
	v_fma_f64 v[173:174], v[177:178], s[6:7], v[181:182]
	v_add_f64 v[175:176], v[183:184], v[185:186]
	v_fma_f64 v[177:178], v[177:178], s[14:15], v[8:9]
	v_fma_f64 v[179:180], v[66:67], s[4:5], v[34:35]
	;; [unrolled: 1-line block ×3, first 2 shown]
	v_mov_b32_e32 v67, 3
	v_fma_f64 v[48:49], v[167:168], s[4:5], v[48:49]
	v_add_f64 v[60:61], v[60:61], v[122:123]
	v_fma_f64 v[8:9], v[171:172], s[4:5], v[169:170]
	v_mul_u32_u24_e32 v66, 0x168, v161
	v_lshlrev_b32_sdwa v161, v67, v162 dst_sel:DWORD dst_unused:UNUSED_PAD src0_sel:DWORD src1_sel:BYTE_0
	v_fma_f64 v[167:168], v[167:168], s[4:5], v[32:33]
	v_fma_f64 v[34:35], v[171:172], s[4:5], v[10:11]
	;; [unrolled: 1-line block ×4, first 2 shown]
	v_add3_u32 v161, 0, v66, v161
	ds_write2_b64 v161, v[38:39], v[50:51] offset1:9
	ds_write2_b64 v161, v[46:47], v[24:25] offset0:18 offset1:27
	ds_write_b64 v161, v[52:53] offset:288
	v_mul_u32_u24_e32 v24, 0x168, v163
	v_lshlrev_b32_sdwa v25, v67, v164 dst_sel:DWORD dst_unused:UNUSED_PAD src0_sel:DWORD src1_sel:BYTE_0
	v_add3_u32 v162, 0, v24, v25
	v_mul_u32_u24_e32 v24, 0x168, v165
	v_lshlrev_b32_sdwa v25, v67, v166 dst_sel:DWORD dst_unused:UNUSED_PAD src0_sel:DWORD src1_sel:BYTE_0
	v_add3_u32 v163, 0, v24, v25
	ds_write2_b64 v162, v[36:37], v[58:59] offset1:9
	ds_write2_b64 v162, v[54:55], v[56:57] offset0:18 offset1:27
	ds_write_b64 v162, v[40:41] offset:288
	ds_write2_b64 v163, v[16:17], v[26:27] offset1:9
	ds_write2_b64 v163, v[44:45], v[62:63] offset0:18 offset1:27
	ds_write_b64 v163, v[42:43] offset:288
	v_mul_u32_u24_e32 v16, 0x168, v245
	v_lshlrev_b32_sdwa v17, v67, v246 dst_sel:DWORD dst_unused:UNUSED_PAD src0_sel:DWORD src1_sel:BYTE_0
	v_add3_u32 v164, 0, v16, v17
	v_mul_u32_u24_e32 v16, 0x168, v247
	v_lshlrev_b32_e32 v17, 3, v248
	v_add3_u32 v165, 0, v16, v17
	ds_write2_b64 v164, v[64:65], v[48:49] offset1:9
	ds_write2_b64 v164, v[179:180], v[18:19] offset0:18 offset1:27
	ds_write_b64 v164, v[167:168] offset:288
	ds_write2_b64 v165, v[60:61], v[8:9] offset1:9
	ds_write2_b64 v165, v[10:11], v[32:33] offset0:18 offset1:27
	ds_write_b64 v165, v[34:35] offset:288
	s_waitcnt lgkmcnt(0)
	; wave barrier
	s_waitcnt lgkmcnt(0)
	ds_read2_b64 v[24:27], v149 offset1:63
	ds_read2_b64 v[16:19], v149 offset0:126 offset1:225
	ds_read2_b64 v[64:67], v160 offset0:66 offset1:129
	;; [unrolled: 1-line block ×9, first 2 shown]
	ds_read_b64 v[106:107], v149 offset:11808
                                        ; implicit-def: $vgpr104_vgpr105
	s_and_saveexec_b64 s[16:17], vcc
	s_cbranch_execz .LBB0_27
; %bb.26:
	v_add_u32_e32 v0, 0x500, v149
	ds_read2_b64 v[8:11], v0 offset0:29 offset1:254
	v_add_u32_e32 v0, 0x1380, v149
	ds_read2_b64 v[32:35], v0 offset0:15 offset1:240
	;; [unrolled: 2-line block ×3, first 2 shown]
	ds_read_b64 v[104:105], v149 offset:12312
.LBB0_27:
	s_or_b64 exec, exec, s[16:17]
	v_add_f64 v[158:159], v[134:135], v[132:133]
	v_add_f64 v[146:147], v[146:147], -v[152:153]
	v_add_f64 v[152:153], v[140:141], v[128:129]
	v_add_f64 v[166:167], v[28:29], v[140:141]
	v_add_f64 v[142:143], v[142:143], -v[144:145]
	v_add_f64 v[144:145], v[140:141], -v[134:135]
	;; [unrolled: 1-line block ×3, first 2 shown]
	v_add_f64 v[172:173], v[30:31], v[110:111]
	v_fma_f64 v[158:159], v[158:159], -0.5, v[28:29]
	v_add_f64 v[140:141], v[134:135], -v[140:141]
	v_fma_f64 v[28:29], v[152:153], -0.5, v[28:29]
	v_add_f64 v[170:171], v[132:133], -v[128:129]
	v_add_f64 v[152:153], v[112:113], v[114:115]
	v_add_f64 v[136:137], v[136:137], -v[138:139]
	v_add_f64 v[134:135], v[166:167], v[134:135]
	v_add_f64 v[144:145], v[144:145], v[168:169]
	v_fma_f64 v[138:139], v[146:147], s[10:11], v[158:159]
	v_fma_f64 v[158:159], v[146:147], s[2:3], v[158:159]
	;; [unrolled: 1-line block ×4, first 2 shown]
	v_add_f64 v[172:173], v[172:173], v[112:113]
	v_add_f64 v[166:167], v[110:111], v[116:117]
	;; [unrolled: 1-line block ×4, first 2 shown]
	v_fma_f64 v[134:135], v[142:143], s[14:15], v[138:139]
	v_fma_f64 v[138:139], v[142:143], s[6:7], v[158:159]
	v_fma_f64 v[142:143], v[152:153], -0.5, v[30:31]
	v_fma_f64 v[152:153], v[146:147], s[14:15], v[168:169]
	v_fma_f64 v[28:29], v[146:147], s[6:7], v[28:29]
	v_add_f64 v[146:147], v[172:173], v[114:115]
	v_add_f64 v[128:129], v[132:133], v[128:129]
	v_add_f64 v[126:127], v[126:127], -v[130:131]
	v_fma_f64 v[132:133], v[144:145], s[4:5], v[134:135]
	v_fma_f64 v[134:135], v[144:145], s[4:5], v[138:139]
	;; [unrolled: 1-line block ×5, first 2 shown]
	v_fma_f64 v[30:31], v[166:167], -0.5, v[30:31]
	v_add_f64 v[140:141], v[146:147], v[116:117]
	v_add_f64 v[144:145], v[110:111], -v[112:113]
	v_add_f64 v[146:147], v[116:117], -v[114:115]
	v_fma_f64 v[142:143], v[136:137], s[2:3], v[142:143]
	v_add_f64 v[152:153], v[20:21], v[80:81]
	v_fma_f64 v[138:139], v[126:127], s[14:15], v[138:139]
	v_add_f64 v[110:111], v[112:113], -v[110:111]
	v_fma_f64 v[166:167], v[126:127], s[2:3], v[30:31]
	v_add_f64 v[112:113], v[114:115], -v[116:117]
	v_fma_f64 v[30:31], v[126:127], s[10:11], v[30:31]
	v_add_f64 v[114:115], v[144:145], v[146:147]
	v_fma_f64 v[116:117], v[126:127], s[6:7], v[142:143]
	v_add_f64 v[126:127], v[152:153], v[82:83]
	v_add_f64 v[158:159], v[82:83], v[84:85]
	v_add_f64 v[118:119], v[118:119], -v[124:125]
	v_fma_f64 v[124:125], v[136:137], s[14:15], v[166:167]
	v_add_f64 v[110:111], v[110:111], v[112:113]
	v_add_f64 v[102:103], v[102:103], -v[108:109]
	v_fma_f64 v[112:113], v[114:115], s[4:5], v[138:139]
	v_fma_f64 v[114:115], v[114:115], s[4:5], v[116:117]
	v_add_f64 v[116:117], v[126:127], v[84:85]
	v_add_f64 v[126:127], v[80:81], v[90:91]
	v_fma_f64 v[142:143], v[158:159], -0.5, v[20:21]
	v_add_f64 v[138:139], v[80:81], -v[82:83]
	v_fma_f64 v[108:109], v[110:111], s[4:5], v[124:125]
	v_add_f64 v[124:125], v[70:71], v[14:15]
	v_add_f64 v[144:145], v[90:91], -v[84:85]
	v_fma_f64 v[30:31], v[136:137], s[6:7], v[30:31]
	v_add_f64 v[98:99], v[98:99], -v[120:121]
	v_fma_f64 v[20:21], v[126:127], -0.5, v[20:21]
	v_add_f64 v[126:127], v[22:23], v[68:69]
	v_fma_f64 v[136:137], v[118:119], s[10:11], v[142:143]
	v_add_f64 v[80:81], v[82:83], -v[80:81]
	v_fma_f64 v[124:125], v[124:125], -0.5, v[22:23]
	v_add_f64 v[120:121], v[138:139], v[144:145]
	v_add_f64 v[82:83], v[84:85], -v[90:91]
	v_fma_f64 v[30:31], v[110:111], s[4:5], v[30:31]
	v_fma_f64 v[138:139], v[102:103], s[2:3], v[20:21]
	;; [unrolled: 1-line block ×3, first 2 shown]
	v_add_f64 v[84:85], v[126:127], v[70:71]
	v_add_f64 v[110:111], v[116:117], v[90:91]
	v_fma_f64 v[116:117], v[102:103], s[14:15], v[136:137]
	v_fma_f64 v[136:137], v[118:119], s[2:3], v[142:143]
	;; [unrolled: 1-line block ×3, first 2 shown]
	v_add_f64 v[94:95], v[94:95], -v[96:97]
	v_add_f64 v[96:97], v[68:69], -v[70:71]
	;; [unrolled: 1-line block ×3, first 2 shown]
	v_fma_f64 v[138:139], v[118:119], s[14:15], v[138:139]
	v_add_f64 v[80:81], v[80:81], v[82:83]
	v_fma_f64 v[20:21], v[118:119], s[6:7], v[20:21]
	v_add_f64 v[82:83], v[84:85], v[14:15]
	;; [unrolled: 2-line block ×4, first 2 shown]
	v_fma_f64 v[96:97], v[120:121], s[4:5], v[116:117]
	v_fma_f64 v[116:117], v[80:81], s[4:5], v[138:139]
	;; [unrolled: 1-line block ×3, first 2 shown]
	v_add_f64 v[80:81], v[82:83], v[72:73]
	v_add_f64 v[82:83], v[78:79], v[76:77]
	v_add_f64 v[68:69], v[70:71], -v[68:69]
	v_add_f64 v[70:71], v[74:75], v[100:101]
	v_fma_f64 v[22:23], v[136:137], -0.5, v[22:23]
	v_add_f64 v[14:15], v[14:15], -v[72:73]
	v_add_f64 v[72:73], v[12:13], v[74:75]
	v_add_f64 v[86:87], v[86:87], -v[122:123]
	v_fma_f64 v[118:119], v[98:99], s[2:3], v[124:125]
	v_fma_f64 v[82:83], v[82:83], -0.5, v[12:13]
	v_add_f64 v[88:89], v[88:89], -v[92:93]
	v_fma_f64 v[12:13], v[70:71], -0.5, v[12:13]
	v_fma_f64 v[102:103], v[120:121], s[4:5], v[102:103]
	v_fma_f64 v[120:121], v[94:95], s[2:3], v[22:23]
	v_add_f64 v[14:15], v[68:69], v[14:15]
	v_fma_f64 v[22:23], v[94:95], s[10:11], v[22:23]
	v_add_f64 v[68:69], v[72:73], v[78:79]
	v_fma_f64 v[70:71], v[86:87], s[10:11], v[82:83]
	v_add_f64 v[72:73], v[74:75], -v[78:79]
	v_add_f64 v[92:93], v[100:101], -v[76:77]
	v_fma_f64 v[82:83], v[86:87], s[2:3], v[82:83]
	v_fma_f64 v[118:119], v[94:95], s[6:7], v[118:119]
	;; [unrolled: 1-line block ×3, first 2 shown]
	v_add_f64 v[74:75], v[78:79], -v[74:75]
	v_add_f64 v[78:79], v[76:77], -v[100:101]
	v_fma_f64 v[12:13], v[88:89], s[10:11], v[12:13]
	v_fma_f64 v[22:23], v[98:99], s[6:7], v[22:23]
	v_add_f64 v[68:69], v[68:69], v[76:77]
	v_fma_f64 v[70:71], v[88:89], s[14:15], v[70:71]
	v_add_f64 v[72:73], v[72:73], v[92:93]
	v_fma_f64 v[76:77], v[88:89], s[6:7], v[82:83]
	v_fma_f64 v[120:121], v[98:99], s[14:15], v[120:121]
	;; [unrolled: 1-line block ×3, first 2 shown]
	v_add_f64 v[74:75], v[74:75], v[78:79]
	v_fma_f64 v[78:79], v[86:87], s[6:7], v[12:13]
	v_fma_f64 v[22:23], v[14:15], s[4:5], v[22:23]
	;; [unrolled: 1-line block ×5, first 2 shown]
	v_add_u32_e32 v72, 0xc00, v149
	v_add_u32_e32 v77, 0x2800, v149
	v_fma_f64 v[86:87], v[90:91], s[4:5], v[118:119]
	v_fma_f64 v[88:89], v[14:15], s[4:5], v[120:121]
	v_add_f64 v[90:91], v[68:69], v[100:101]
	v_fma_f64 v[14:15], v[74:75], s[4:5], v[82:83]
	v_fma_f64 v[68:69], v[74:75], s[4:5], v[78:79]
	s_waitcnt lgkmcnt(0)
	; wave barrier
	s_waitcnt lgkmcnt(0)
	ds_write2_b64 v161, v[128:129], v[132:133] offset1:9
	ds_write2_b64 v161, v[130:131], v[28:29] offset0:18 offset1:27
	ds_write_b64 v161, v[134:135] offset:288
	ds_write2_b64 v162, v[140:141], v[112:113] offset1:9
	ds_write2_b64 v162, v[108:109], v[30:31] offset0:18 offset1:27
	ds_write_b64 v162, v[114:115] offset:288
	;; [unrolled: 3-line block ×5, first 2 shown]
	s_waitcnt lgkmcnt(0)
	; wave barrier
	s_waitcnt lgkmcnt(0)
	ds_read2_b64 v[28:31], v149 offset1:63
	ds_read2_b64 v[20:23], v149 offset0:126 offset1:225
	ds_read2_b64 v[100:103], v72 offset0:66 offset1:129
	v_add_u32_e32 v72, 0x1000, v149
	ds_read2_b64 v[92:95], v77 offset0:70 offset1:133
	v_add_u32_e32 v77, 0x800, v149
	;; [unrolled: 2-line block ×3, first 2 shown]
	v_add_u32_e32 v76, 0x2000, v149
	ds_read2_b64 v[88:91], v77 offset0:32 offset1:95
	v_add_u32_e32 v77, 0x1400, v149
	ds_read2_b64 v[96:99], v72 offset0:132 offset1:195
	ds_read2_b64 v[72:75], v76 offset0:2 offset1:101
	;; [unrolled: 1-line block ×4, first 2 shown]
	ds_read_b64 v[110:111], v149 offset:11808
                                        ; implicit-def: $vgpr108_vgpr109
	s_and_saveexec_b64 s[2:3], vcc
	s_cbranch_execz .LBB0_29
; %bb.28:
	v_add_u32_e32 v4, 0x500, v149
	ds_read2_b64 v[12:15], v4 offset0:29 offset1:254
	v_add_u32_e32 v4, 0x1380, v149
	ds_read2_b64 v[68:71], v4 offset0:15 offset1:240
	;; [unrolled: 2-line block ×3, first 2 shown]
	ds_read_b64 v[108:109], v149 offset:12312
.LBB0_29:
	s_or_b64 exec, exec, s[2:3]
	v_subrev_u32_e32 v112, 45, v148
	v_cmp_gt_u32_e64 s[2:3], 45, v148
	v_cndmask_b32_e64 v142, v112, v148, s[2:3]
	v_mul_i32_i24_e32 v112, 6, v142
	v_mov_b32_e32 v113, 0
	v_lshlrev_b64 v[112:113], 4, v[112:113]
	v_mov_b32_e32 v114, s9
	v_add_co_u32_e64 v120, s[2:3], s8, v112
	v_addc_co_u32_e64 v121, s[2:3], v114, v113, s[2:3]
	s_movk_i32 s2, 0x6d
	global_load_dwordx4 v[112:115], v[120:121], off offset:720
	global_load_dwordx4 v[116:119], v[120:121], off offset:704
	;; [unrolled: 1-line block ×6, first 2 shown]
	v_mul_lo_u16_sdwa v120, v155, s2 dst_sel:DWORD dst_unused:UNUSED_PAD src0_sel:BYTE_0 src1_sel:DWORD
	v_sub_u16_sdwa v121, v155, v120 dst_sel:DWORD dst_unused:UNUSED_PAD src0_sel:DWORD src1_sel:BYTE_1
	v_lshrrev_b16_e32 v121, 1, v121
	v_and_b32_e32 v121, 0x7f, v121
	v_add_u16_sdwa v120, v121, v120 dst_sel:DWORD dst_unused:UNUSED_PAD src0_sel:DWORD src1_sel:BYTE_1
	v_lshrrev_b16_e32 v143, 5, v120
	v_mul_lo_u16_e32 v120, 45, v143
	v_sub_u16_e32 v144, v155, v120
	v_mov_b32_e32 v120, 6
	v_mul_u32_u24_sdwa v121, v144, v120 dst_sel:DWORD dst_unused:UNUSED_PAD src0_sel:BYTE_0 src1_sel:DWORD
	v_lshlrev_b32_e32 v121, 4, v121
	global_load_dwordx4 v[162:165], v121, s[8:9] offset:672
	global_load_dwordx4 v[166:169], v121, s[8:9] offset:688
	global_load_dwordx4 v[170:173], v121, s[8:9] offset:704
	global_load_dwordx4 v[174:177], v121, s[8:9] offset:720
	v_mul_lo_u16_sdwa v130, v156, s2 dst_sel:DWORD dst_unused:UNUSED_PAD src0_sel:BYTE_0 src1_sel:DWORD
	global_load_dwordx4 v[178:181], v121, s[8:9] offset:752
	global_load_dwordx4 v[182:185], v121, s[8:9] offset:736
	v_sub_u16_sdwa v131, v156, v130 dst_sel:DWORD dst_unused:UNUSED_PAD src0_sel:DWORD src1_sel:BYTE_1
	v_lshrrev_b16_e32 v131, 1, v131
	v_and_b32_e32 v131, 0x7f, v131
	v_add_u16_sdwa v130, v131, v130 dst_sel:DWORD dst_unused:UNUSED_PAD src0_sel:DWORD src1_sel:BYTE_1
	v_lshrrev_b16_e32 v145, 5, v130
	v_mul_lo_u16_e32 v121, 45, v145
	v_sub_u16_e32 v146, v156, v121
	v_mul_u32_u24_sdwa v120, v146, v120 dst_sel:DWORD dst_unused:UNUSED_PAD src0_sel:BYTE_0 src1_sel:DWORD
	v_lshlrev_b32_e32 v120, 4, v120
	global_load_dwordx4 v[186:189], v120, s[8:9] offset:672
	global_load_dwordx4 v[190:193], v120, s[8:9] offset:688
	;; [unrolled: 1-line block ×4, first 2 shown]
	v_mul_lo_u16_sdwa v121, v157, s2 dst_sel:DWORD dst_unused:UNUSED_PAD src0_sel:BYTE_0 src1_sel:DWORD
	global_load_dwordx4 v[202:205], v120, s[8:9] offset:752
	global_load_dwordx4 v[206:209], v120, s[8:9] offset:736
	v_sub_u16_sdwa v130, v157, v121 dst_sel:DWORD dst_unused:UNUSED_PAD src0_sel:DWORD src1_sel:BYTE_1
	v_lshrrev_b16_e32 v120, 1, v130
	v_and_b32_e32 v120, 0x7f, v120
	v_add_u16_sdwa v120, v120, v121 dst_sel:DWORD dst_unused:UNUSED_PAD src0_sel:DWORD src1_sel:BYTE_1
	v_lshrrev_b16_e32 v120, 5, v120
	v_mul_lo_u16_e32 v120, 45, v120
	v_sub_u16_e32 v120, v157, v120
	v_and_b32_e32 v147, 0xff, v120
	v_mul_u32_u24_e32 v120, 6, v147
	v_lshlrev_b32_e32 v120, 4, v120
	global_load_dwordx4 v[210:213], v120, s[8:9] offset:672
	global_load_dwordx4 v[214:217], v120, s[8:9] offset:688
	;; [unrolled: 1-line block ×6, first 2 shown]
	s_mov_b32 s6, 0x37e14327
	s_mov_b32 s4, 0x36b3c0b5
	;; [unrolled: 1-line block ×20, first 2 shown]
	v_cmp_lt_u32_e64 s[2:3], 44, v148
	s_waitcnt lgkmcnt(0)
	; wave barrier
	s_waitcnt vmcnt(23) lgkmcnt(0)
	v_mul_f64 v[152:153], v[96:97], v[114:115]
	s_waitcnt vmcnt(22)
	v_mul_f64 v[138:139], v[82:83], v[118:119]
	s_waitcnt vmcnt(21)
	;; [unrolled: 2-line block ×3, first 2 shown]
	v_mul_f64 v[120:121], v[22:23], v[128:129]
	v_mul_f64 v[128:129], v[18:19], v[128:129]
	;; [unrolled: 1-line block ×3, first 2 shown]
	s_waitcnt vmcnt(18)
	v_mul_f64 v[234:235], v[74:75], v[136:137]
	v_mul_f64 v[140:141], v[46:47], v[118:119]
	;; [unrolled: 1-line block ×6, first 2 shown]
	v_fma_f64 v[118:119], v[18:19], v[126:127], v[120:121]
	v_fma_f64 v[124:125], v[22:23], v[126:127], -v[128:129]
	s_waitcnt vmcnt(17)
	v_mul_f64 v[240:241], v[88:89], v[164:165]
	s_waitcnt vmcnt(16)
	v_mul_f64 v[242:243], v[102:103], v[168:169]
	v_mul_f64 v[168:169], v[66:67], v[168:169]
	s_waitcnt vmcnt(15)
	v_mul_f64 v[244:245], v[84:85], v[172:173]
	v_fma_f64 v[120:121], v[64:65], v[122:123], v[130:131]
	v_fma_f64 v[126:127], v[100:101], v[122:123], -v[132:133]
	v_fma_f64 v[122:123], v[46:47], v[116:117], v[138:139]
	v_fma_f64 v[136:137], v[38:39], v[134:135], v[234:235]
	v_mul_f64 v[18:19], v[48:49], v[172:173]
	s_waitcnt vmcnt(14)
	v_mul_f64 v[22:23], v[98:99], v[176:177]
	v_mul_f64 v[38:39], v[62:63], v[176:177]
	s_waitcnt vmcnt(12)
	v_mul_f64 v[46:47], v[76:77], v[184:185]
	v_mul_f64 v[164:165], v[52:53], v[164:165]
	v_fma_f64 v[128:129], v[82:83], v[116:117], -v[140:141]
	v_fma_f64 v[130:131], v[60:61], v[112:113], v[152:153]
	v_fma_f64 v[132:133], v[96:97], v[112:113], -v[114:115]
	v_fma_f64 v[140:141], v[92:93], v[158:159], -v[160:161]
	v_fma_f64 v[82:83], v[52:53], v[162:163], v[240:241]
	v_fma_f64 v[112:113], v[102:103], v[166:167], -v[168:169]
	v_fma_f64 v[92:93], v[48:49], v[170:171], v[244:245]
	v_mul_f64 v[48:49], v[40:41], v[184:185]
	v_mul_f64 v[52:53], v[94:95], v[180:181]
	v_fma_f64 v[100:101], v[84:85], v[170:171], -v[18:19]
	v_fma_f64 v[84:85], v[62:63], v[174:175], v[22:23]
	v_mul_f64 v[18:19], v[58:59], v[180:181]
	s_waitcnt vmcnt(11)
	v_mul_f64 v[22:23], v[90:91], v[188:189]
	v_fma_f64 v[102:103], v[98:99], v[174:175], -v[38:39]
	v_fma_f64 v[96:97], v[40:41], v[182:183], v[46:47]
	v_mul_f64 v[38:39], v[54:55], v[188:189]
	s_waitcnt vmcnt(10)
	v_mul_f64 v[40:41], v[80:81], v[192:193]
	v_mul_f64 v[46:47], v[44:45], v[192:193]
	v_fma_f64 v[138:139], v[74:75], v[134:135], -v[236:237]
	v_fma_f64 v[134:135], v[56:57], v[158:159], v[238:239]
	v_fma_f64 v[116:117], v[76:77], v[182:183], -v[48:49]
	v_fma_f64 v[98:99], v[58:59], v[178:179], v[52:53]
	;; [unrolled: 2-line block ×3, first 2 shown]
	s_waitcnt vmcnt(9)
	v_mul_f64 v[48:49], v[86:87], v[196:197]
	v_mul_f64 v[52:53], v[50:51], v[196:197]
	s_waitcnt vmcnt(8)
	v_mul_f64 v[58:59], v[72:73], v[200:201]
	v_fma_f64 v[56:57], v[90:91], v[186:187], -v[38:39]
	v_fma_f64 v[22:23], v[44:45], v[190:191], v[40:41]
	v_mul_f64 v[38:39], v[36:37], v[200:201]
	s_waitcnt vmcnt(6)
	v_mul_f64 v[40:41], v[78:79], v[208:209]
	v_fma_f64 v[74:75], v[80:81], v[190:191], -v[46:47]
	v_mul_f64 v[46:47], v[42:43], v[208:209]
	v_fma_f64 v[44:45], v[50:51], v[194:195], v[48:49]
	v_fma_f64 v[54:55], v[86:87], v[194:195], -v[52:53]
	v_fma_f64 v[36:37], v[36:37], v[198:199], v[58:59]
	v_mul_f64 v[48:49], v[110:111], v[204:205]
	v_fma_f64 v[60:61], v[72:73], v[198:199], -v[38:39]
	v_fma_f64 v[42:43], v[42:43], v[206:207], v[40:41]
	v_mul_f64 v[38:39], v[106:107], v[204:205]
	s_waitcnt vmcnt(5)
	v_mul_f64 v[40:41], v[14:15], v[212:213]
	v_mul_f64 v[50:51], v[10:11], v[212:213]
	s_waitcnt vmcnt(4)
	v_mul_f64 v[52:53], v[68:69], v[216:217]
	v_fma_f64 v[72:73], v[78:79], v[206:207], -v[46:47]
	v_mul_f64 v[46:47], v[32:33], v[216:217]
	s_waitcnt vmcnt(3)
	v_mul_f64 v[58:59], v[70:71], v[220:221]
	v_fma_f64 v[62:63], v[106:107], v[202:203], v[48:49]
	v_fma_f64 v[76:77], v[110:111], v[202:203], -v[38:39]
	v_fma_f64 v[38:39], v[10:11], v[210:211], v[40:41]
	v_fma_f64 v[48:49], v[14:15], v[210:211], -v[50:51]
	v_fma_f64 v[40:41], v[32:33], v[214:215], v[52:53]
	v_mul_f64 v[10:11], v[34:35], v[220:221]
	s_waitcnt vmcnt(2)
	v_mul_f64 v[14:15], v[4:5], v[224:225]
	v_fma_f64 v[50:51], v[68:69], v[214:215], -v[46:47]
	v_fma_f64 v[46:47], v[34:35], v[218:219], v[58:59]
	v_add_f64 v[32:33], v[118:119], v[134:135]
	v_add_f64 v[34:35], v[120:121], v[136:137]
	v_mul_f64 v[64:65], v[0:1], v[224:225]
	v_fma_f64 v[114:115], v[88:89], v[162:163], -v[164:165]
	v_fma_f64 v[52:53], v[70:71], v[218:219], -v[10:11]
	v_fma_f64 v[58:59], v[0:1], v[222:223], v[14:15]
	v_add_f64 v[0:1], v[126:127], -v[138:139]
	v_add_f64 v[10:11], v[122:123], v[130:131]
	v_add_f64 v[14:15], v[132:133], -v[128:129]
	v_add_f64 v[68:69], v[34:35], v[32:33]
	v_add_f64 v[70:71], v[124:125], -v[140:141]
	v_add_f64 v[86:87], v[34:35], -v[32:33]
	v_fma_f64 v[88:89], v[66:67], v[166:167], v[242:243]
	s_waitcnt vmcnt(0)
	v_mul_f64 v[66:67], v[6:7], v[232:233]
	v_fma_f64 v[64:65], v[4:5], v[222:223], -v[64:65]
	v_add_f64 v[32:33], v[32:33], -v[10:11]
	v_add_f64 v[80:81], v[14:15], v[0:1]
	v_add_f64 v[68:69], v[10:11], v[68:69]
	v_add_f64 v[10:11], v[10:11], -v[34:35]
	v_add_f64 v[34:35], v[14:15], -v[0:1]
	;; [unrolled: 1-line block ×4, first 2 shown]
	v_fma_f64 v[66:67], v[2:3], v[230:231], v[66:67]
	v_mul_f64 v[32:33], v[32:33], s[6:7]
	v_add_f64 v[70:71], v[80:81], v[70:71]
	v_add_f64 v[24:25], v[24:25], v[68:69]
	v_mul_f64 v[80:81], v[10:11], s[4:5]
	v_mul_f64 v[34:35], v[34:35], s[14:15]
	;; [unrolled: 1-line block ×5, first 2 shown]
	v_fma_f64 v[10:11], v[10:11], s[4:5], v[32:33]
	v_fma_f64 v[32:33], v[86:87], s[20:21], -v[32:33]
	v_fma_f64 v[68:69], v[68:69], s[16:17], v[24:25]
	v_fma_f64 v[80:81], v[86:87], s[18:19], -v[80:81]
	;; [unrolled: 2-line block ×3, first 2 shown]
	v_mul_f64 v[78:79], v[104:105], v[228:229]
	v_fma_f64 v[14:15], v[14:15], s[26:27], -v[90:91]
	v_add_f64 v[90:91], v[88:89], v[96:97]
	v_add_f64 v[110:111], v[102:103], -v[100:101]
	v_add_f64 v[10:11], v[10:11], v[68:69]
	v_add_f64 v[34:35], v[80:81], v[68:69]
	v_fma_f64 v[80:81], v[70:71], s[24:25], v[86:87]
	v_add_f64 v[86:87], v[82:83], v[98:99]
	v_fma_f64 v[0:1], v[70:71], s[24:25], v[0:1]
	;; [unrolled: 2-line block ×3, first 2 shown]
	v_fma_f64 v[68:69], v[6:7], v[230:231], -v[2:3]
	v_fma_f64 v[70:71], v[104:105], v[226:227], v[4:5]
	v_fma_f64 v[78:79], v[108:109], v[226:227], -v[78:79]
	v_add_f64 v[6:7], v[92:93], v[84:85]
	v_add_f64 v[104:105], v[90:91], v[86:87]
	v_add_f64 v[106:107], v[34:35], -v[0:1]
	v_add_f64 v[108:109], v[112:113], -v[116:117]
	v_add_f64 v[0:1], v[0:1], v[34:35]
	v_add_f64 v[34:35], v[114:115], -v[94:95]
	v_add_f64 v[2:3], v[80:81], v[10:11]
	v_add_f64 v[4:5], v[14:15], v[32:33]
	v_add_f64 v[14:15], v[32:33], -v[14:15]
	v_add_f64 v[10:11], v[10:11], -v[80:81]
	v_add_f64 v[32:33], v[6:7], v[104:105]
	v_add_f64 v[80:81], v[86:87], -v[6:7]
	v_add_f64 v[6:7], v[6:7], -v[90:91]
	;; [unrolled: 3-line block ×3, first 2 shown]
	v_add_f64 v[86:87], v[90:91], -v[86:87]
	v_add_f64 v[90:91], v[34:35], -v[110:111]
	v_add_f64 v[26:27], v[26:27], v[32:33]
	v_mul_f64 v[80:81], v[80:81], s[6:7]
	v_mul_f64 v[110:111], v[6:7], s[4:5]
	v_add_f64 v[34:35], v[104:105], v[34:35]
	v_mul_f64 v[104:105], v[152:153], s[14:15]
	v_mul_f64 v[152:153], v[108:109], s[10:11]
	v_add_f64 v[158:159], v[18:19], v[62:63]
	v_add_f64 v[160:161], v[22:23], v[42:43]
	v_fma_f64 v[32:33], v[32:33], s[16:17], v[26:27]
	v_fma_f64 v[6:7], v[6:7], s[4:5], v[80:81]
	v_fma_f64 v[110:111], v[86:87], s[18:19], -v[110:111]
	v_fma_f64 v[80:81], v[86:87], s[20:21], -v[80:81]
	v_fma_f64 v[86:87], v[90:91], s[22:23], v[104:105]
	v_fma_f64 v[104:105], v[108:109], s[10:11], -v[104:105]
	v_add_f64 v[108:109], v[44:45], v[36:37]
	v_add_f64 v[162:163], v[160:161], v[158:159]
	v_fma_f64 v[90:91], v[90:91], s[26:27], -v[152:153]
	v_add_f64 v[152:153], v[74:75], -v[72:73]
	v_add_f64 v[164:165], v[60:61], -v[54:55]
	;; [unrolled: 1-line block ×3, first 2 shown]
	v_add_f64 v[6:7], v[6:7], v[32:33]
	v_add_f64 v[110:111], v[110:111], v[32:33]
	;; [unrolled: 1-line block ×4, first 2 shown]
	v_add_f64 v[162:163], v[158:159], -v[108:109]
	v_add_f64 v[108:109], v[108:109], -v[160:161]
	;; [unrolled: 1-line block ×5, first 2 shown]
	v_add_f64 v[152:153], v[164:165], v[152:153]
	v_add_f64 v[164:165], v[166:167], -v[164:165]
	v_add_f64 v[16:17], v[16:17], v[80:81]
	v_mul_f64 v[160:161], v[162:163], s[6:7]
	v_mul_f64 v[162:163], v[108:109], s[4:5]
	;; [unrolled: 1-line block ×4, first 2 shown]
	v_fma_f64 v[86:87], v[34:35], s[24:25], v[86:87]
	v_add_f64 v[152:153], v[152:153], v[166:167]
	v_fma_f64 v[104:105], v[34:35], s[24:25], v[104:105]
	v_fma_f64 v[80:81], v[80:81], s[16:17], v[16:17]
	;; [unrolled: 1-line block ×3, first 2 shown]
	v_fma_f64 v[162:163], v[158:159], s[18:19], -v[162:163]
	v_fma_f64 v[158:159], v[158:159], s[20:21], -v[160:161]
	v_fma_f64 v[160:161], v[164:165], s[22:23], v[168:169]
	v_fma_f64 v[164:165], v[164:165], s[26:27], -v[172:173]
	v_fma_f64 v[166:167], v[170:171], s[10:11], -v[168:169]
	v_fma_f64 v[34:35], v[34:35], s[24:25], v[90:91]
	v_add_f64 v[90:91], v[86:87], v[6:7]
	v_add_f64 v[108:109], v[108:109], v[80:81]
	;; [unrolled: 1-line block ×4, first 2 shown]
	v_fma_f64 v[158:159], v[152:153], s[24:25], v[160:161]
	v_fma_f64 v[160:161], v[152:153], s[24:25], v[164:165]
	;; [unrolled: 1-line block ×3, first 2 shown]
	v_add_f64 v[164:165], v[34:35], v[32:33]
	v_add_f64 v[32:33], v[32:33], -v[34:35]
	v_add_f64 v[166:167], v[110:111], -v[104:105]
	v_add_f64 v[104:105], v[104:105], v[110:111]
	v_add_f64 v[6:7], v[6:7], -v[86:87]
	v_add_f64 v[34:35], v[158:159], v[108:109]
	v_add_f64 v[110:111], v[160:161], v[80:81]
	v_add_f64 v[168:169], v[162:163], -v[152:153]
	v_add_f64 v[160:161], v[80:81], -v[160:161]
	v_mov_b32_e32 v80, 0x9d8
	v_add_f64 v[152:153], v[152:153], v[162:163]
	v_cndmask_b32_e64 v80, 0, v80, s[2:3]
	v_lshlrev_b32_e32 v81, 3, v142
	v_add_f64 v[108:109], v[108:109], -v[158:159]
	v_add3_u32 v81, 0, v80, v81
	ds_write2_b64 v81, v[24:25], v[2:3] offset1:45
	ds_write2_b64 v81, v[4:5], v[106:107] offset0:90 offset1:135
	ds_write2_b64 v81, v[0:1], v[14:15] offset0:180 offset1:225
	ds_write_b64 v81, v[10:11] offset:2160
	v_mov_b32_e32 v1, 3
	v_mul_u32_u24_e32 v0, 0x9d8, v143
	v_lshlrev_b32_sdwa v2, v1, v144 dst_sel:DWORD dst_unused:UNUSED_PAD src0_sel:DWORD src1_sel:BYTE_0
	v_add3_u32 v86, 0, v0, v2
	v_mul_u32_u24_e32 v0, 0x9d8, v145
	v_lshlrev_b32_sdwa v1, v1, v146 dst_sel:DWORD dst_unused:UNUSED_PAD src0_sel:DWORD src1_sel:BYTE_0
	v_add3_u32 v87, 0, v0, v1
	v_lshl_add_u32 v80, v147, 3, 0
	ds_write2_b64 v86, v[26:27], v[90:91] offset1:45
	ds_write2_b64 v86, v[164:165], v[166:167] offset0:90 offset1:135
	ds_write2_b64 v86, v[104:105], v[32:33] offset0:180 offset1:225
	ds_write_b64 v86, v[6:7] offset:2160
	ds_write2_b64 v87, v[16:17], v[34:35] offset1:45
	ds_write2_b64 v87, v[110:111], v[168:169] offset0:90 offset1:135
	ds_write2_b64 v87, v[152:153], v[160:161] offset0:180 offset1:225
	ds_write_b64 v87, v[108:109] offset:2160
	s_and_saveexec_b64 s[2:3], vcc
	s_cbranch_execz .LBB0_31
; %bb.30:
	v_add_f64 v[0:1], v[40:41], v[66:67]
	v_add_f64 v[2:3], v[38:39], v[70:71]
	v_add_f64 v[4:5], v[64:65], -v[52:53]
	v_add_f64 v[6:7], v[50:51], -v[68:69]
	v_add_f64 v[10:11], v[46:47], v[58:59]
	v_add_f64 v[14:15], v[48:49], -v[78:79]
	v_add_f64 v[16:17], v[0:1], v[2:3]
	v_add_f64 v[24:25], v[4:5], -v[6:7]
	v_add_f64 v[26:27], v[2:3], -v[10:11]
	v_add_f64 v[32:33], v[6:7], -v[14:15]
	v_add_f64 v[34:35], v[10:11], -v[0:1]
	v_add_f64 v[6:7], v[4:5], v[6:7]
	v_add_f64 v[4:5], v[14:15], -v[4:5]
	v_add_f64 v[10:11], v[10:11], v[16:17]
	v_add_f64 v[0:1], v[0:1], -v[2:3]
	v_mul_f64 v[2:3], v[24:25], s[14:15]
	v_mul_f64 v[16:17], v[26:27], s[6:7]
	;; [unrolled: 1-line block ×4, first 2 shown]
	v_add_f64 v[6:7], v[6:7], v[14:15]
	v_add_f64 v[8:9], v[8:9], v[10:11]
	v_fma_f64 v[14:15], v[4:5], s[22:23], v[2:3]
	v_fma_f64 v[90:91], v[0:1], s[20:21], -v[16:17]
	v_fma_f64 v[4:5], v[4:5], s[26:27], -v[24:25]
	;; [unrolled: 1-line block ×4, first 2 shown]
	v_fma_f64 v[16:17], v[34:35], s[4:5], v[16:17]
	v_fma_f64 v[10:11], v[10:11], s[16:17], v[8:9]
	;; [unrolled: 1-line block ×5, first 2 shown]
	v_add_f64 v[6:7], v[90:91], v[10:11]
	v_add_f64 v[0:1], v[0:1], v[10:11]
	v_add_f64 v[10:11], v[16:17], v[10:11]
	v_add_f64 v[16:17], v[6:7], -v[4:5]
	v_add_f64 v[24:25], v[0:1], -v[2:3]
	v_add_f64 v[26:27], v[14:15], v[10:11]
	v_add_f64 v[4:5], v[4:5], v[6:7]
	;; [unrolled: 1-line block ×3, first 2 shown]
	v_add_f64 v[2:3], v[10:11], -v[14:15]
	v_add_u32_e32 v6, 0x2400, v80
	v_add_u32_e32 v7, 0x2800, v80
	ds_write2_b64 v6, v[8:9], v[26:27] offset0:108 offset1:153
	ds_write2_b64 v7, v[4:5], v[24:25] offset0:70 offset1:115
	;; [unrolled: 1-line block ×3, first 2 shown]
	ds_write_b64 v80, v[2:3] offset:12240
.LBB0_31:
	s_or_b64 exec, exec, s[2:3]
	v_add_f64 v[0:1], v[124:125], v[140:141]
	v_add_f64 v[2:3], v[126:127], v[138:139]
	v_add_f64 v[4:5], v[120:121], -v[136:137]
	v_add_f64 v[6:7], v[128:129], v[132:133]
	v_add_f64 v[8:9], v[130:131], -v[122:123]
	v_add_f64 v[10:11], v[118:119], -v[134:135]
	v_add_f64 v[26:27], v[114:115], v[94:95]
	v_add_f64 v[34:35], v[112:113], v[116:117]
	v_add_f64 v[18:19], v[18:19], -v[62:63]
	v_add_f64 v[14:15], v[2:3], v[0:1]
	s_waitcnt lgkmcnt(0)
	v_add_f64 v[16:17], v[0:1], -v[6:7]
	v_add_f64 v[24:25], v[8:9], -v[4:5]
	;; [unrolled: 1-line block ×3, first 2 shown]
	v_add_f64 v[4:5], v[8:9], v[4:5]
	v_add_f64 v[8:9], v[10:11], -v[8:9]
	v_add_f64 v[0:1], v[2:3], -v[0:1]
	v_add_f64 v[14:15], v[6:7], v[14:15]
	v_add_f64 v[6:7], v[6:7], -v[2:3]
	v_mul_f64 v[16:17], v[16:17], s[6:7]
	v_mul_f64 v[24:25], v[24:25], s[14:15]
	;; [unrolled: 1-line block ×3, first 2 shown]
	v_add_f64 v[4:5], v[4:5], v[10:11]
	; wave barrier
	v_add_f64 v[94:95], v[28:29], v[14:15]
	v_mul_f64 v[2:3], v[6:7], s[4:5]
	v_fma_f64 v[6:7], v[6:7], s[4:5], v[16:17]
	v_fma_f64 v[10:11], v[8:9], s[22:23], v[24:25]
	v_fma_f64 v[24:25], v[32:33], s[10:11], -v[24:25]
	v_fma_f64 v[8:9], v[8:9], s[26:27], -v[90:91]
	;; [unrolled: 1-line block ×3, first 2 shown]
	v_add_f64 v[28:29], v[34:35], v[26:27]
	v_fma_f64 v[14:15], v[14:15], s[16:17], v[94:95]
	v_fma_f64 v[0:1], v[0:1], s[18:19], -v[2:3]
	v_add_f64 v[2:3], v[100:101], v[102:103]
	v_fma_f64 v[10:11], v[4:5], s[24:25], v[10:11]
	v_fma_f64 v[24:25], v[4:5], s[24:25], v[24:25]
	;; [unrolled: 1-line block ×3, first 2 shown]
	v_add_f64 v[32:33], v[84:85], -v[92:93]
	v_add_f64 v[6:7], v[6:7], v[14:15]
	v_add_f64 v[8:9], v[16:17], v[14:15]
	;; [unrolled: 1-line block ×3, first 2 shown]
	v_add_f64 v[14:15], v[82:83], -v[98:99]
	v_add_f64 v[16:17], v[88:89], -v[96:97]
	;; [unrolled: 1-line block ×3, first 2 shown]
	v_add_f64 v[28:29], v[2:3], v[28:29]
	v_add_f64 v[84:85], v[6:7], -v[10:11]
	v_add_f64 v[88:89], v[8:9], -v[4:5]
	v_add_f64 v[90:91], v[24:25], v[0:1]
	v_add_f64 v[92:93], v[0:1], -v[24:25]
	v_add_f64 v[96:97], v[4:5], v[8:9]
	v_add_f64 v[98:99], v[10:11], v[6:7]
	v_add_f64 v[0:1], v[2:3], -v[34:35]
	v_add_f64 v[2:3], v[32:33], v[16:17]
	v_add_f64 v[4:5], v[32:33], -v[16:17]
	v_add_f64 v[6:7], v[16:17], -v[14:15]
	v_add_f64 v[8:9], v[34:35], -v[26:27]
	v_add_f64 v[10:11], v[14:15], -v[32:33]
	v_add_f64 v[100:101], v[30:31], v[28:29]
	v_mul_f64 v[16:17], v[82:83], s[6:7]
	v_mul_f64 v[24:25], v[0:1], s[4:5]
	v_add_f64 v[2:3], v[2:3], v[14:15]
	v_mul_f64 v[4:5], v[4:5], s[14:15]
	v_mul_f64 v[14:15], v[6:7], s[10:11]
	v_add_f64 v[26:27], v[56:57], v[76:77]
	v_add_f64 v[30:31], v[74:75], v[72:73]
	v_fma_f64 v[28:29], v[28:29], s[16:17], v[100:101]
	v_fma_f64 v[0:1], v[0:1], s[4:5], v[16:17]
	v_fma_f64 v[24:25], v[8:9], s[18:19], -v[24:25]
	v_fma_f64 v[8:9], v[8:9], s[20:21], -v[16:17]
	v_fma_f64 v[16:17], v[10:11], s[22:23], v[4:5]
	v_fma_f64 v[4:5], v[6:7], s[10:11], -v[4:5]
	v_add_f64 v[6:7], v[54:55], v[60:61]
	v_add_f64 v[32:33], v[30:31], v[26:27]
	v_fma_f64 v[10:11], v[10:11], s[26:27], -v[14:15]
	v_add_f64 v[14:15], v[22:23], -v[42:43]
	v_add_f64 v[22:23], v[36:37], -v[44:45]
	v_add_f64 v[0:1], v[0:1], v[28:29]
	v_add_f64 v[24:25], v[24:25], v[28:29]
	;; [unrolled: 1-line block ×3, first 2 shown]
	v_fma_f64 v[16:17], v[2:3], s[24:25], v[16:17]
	v_add_f64 v[28:29], v[6:7], v[32:33]
	v_add_f64 v[32:33], v[26:27], -v[6:7]
	v_add_f64 v[6:7], v[6:7], -v[30:31]
	;; [unrolled: 1-line block ×5, first 2 shown]
	v_add_f64 v[14:15], v[22:23], v[14:15]
	v_add_f64 v[22:23], v[18:19], -v[22:23]
	v_add_f64 v[72:73], v[20:21], v[28:29]
	v_mul_f64 v[20:21], v[32:33], s[6:7]
	v_mul_f64 v[30:31], v[6:7], s[4:5]
	;; [unrolled: 1-line block ×4, first 2 shown]
	v_fma_f64 v[4:5], v[2:3], s[24:25], v[4:5]
	v_add_f64 v[14:15], v[14:15], v[18:19]
	v_fma_f64 v[2:3], v[2:3], s[24:25], v[10:11]
	v_fma_f64 v[18:19], v[28:29], s[16:17], v[72:73]
	;; [unrolled: 1-line block ×3, first 2 shown]
	v_fma_f64 v[28:29], v[26:27], s[18:19], -v[30:31]
	v_fma_f64 v[20:21], v[26:27], s[20:21], -v[20:21]
	v_fma_f64 v[26:27], v[22:23], s[22:23], v[32:33]
	v_fma_f64 v[22:23], v[22:23], s[26:27], -v[34:35]
	v_fma_f64 v[30:31], v[36:37], s[10:11], -v[32:33]
	v_add_f64 v[82:83], v[8:9], -v[2:3]
	v_add_f64 v[106:107], v[2:3], v[8:9]
	v_add_f64 v[6:7], v[6:7], v[18:19]
	;; [unrolled: 1-line block ×4, first 2 shown]
	v_fma_f64 v[20:21], v[14:15], s[24:25], v[26:27]
	v_fma_f64 v[22:23], v[14:15], s[24:25], v[22:23]
	;; [unrolled: 1-line block ×3, first 2 shown]
	v_add_u32_e32 v8, 0x1000, v149
	v_add_f64 v[76:77], v[0:1], -v[16:17]
	v_add_f64 v[108:109], v[16:17], v[0:1]
	v_add_f64 v[102:103], v[4:5], v[24:25]
	v_add_f64 v[104:105], v[24:25], -v[4:5]
	v_add_f64 v[110:111], v[6:7], -v[20:21]
	;; [unrolled: 1-line block ×3, first 2 shown]
	v_add_f64 v[114:115], v[14:15], v[10:11]
	v_add_f64 v[116:117], v[10:11], -v[14:15]
	ds_read2_b64 v[14:17], v8 offset0:118 offset1:181
	v_add_u32_e32 v8, 0x1800, v149
	v_add_f64 v[118:119], v[22:23], v[18:19]
	v_add_f64 v[120:121], v[20:21], v[6:7]
	v_add_u32_e32 v4, 0x400, v149
	ds_read2_b64 v[18:21], v8 offset0:114 offset1:177
	v_add_u32_e32 v8, 0x2400, v149
	v_add_u32_e32 v22, 0x800, v149
	;; [unrolled: 1-line block ×4, first 2 shown]
	ds_read2_b64 v[0:3], v149 offset1:63
	ds_read2_b64 v[4:7], v4 offset0:124 offset1:187
	ds_read2_b64 v[8:11], v8 offset0:108 offset1:171
	;; [unrolled: 1-line block ×6, first 2 shown]
	v_add_u32_e32 v34, 0x2800, v149
	ds_read2_b64 v[54:57], v34 offset0:106 offset1:169
	v_add_u32_e32 v34, 0xc00, v149
	v_add_u32_e32 v42, 0x2000, v149
	ds_read2_b64 v[34:37], v34 offset0:120 offset1:183
	ds_read2_b64 v[42:45], v42 offset0:110 offset1:173
	ds_read_b64 v[74:75], v149 offset:12096
	s_waitcnt lgkmcnt(0)
	; wave barrier
	s_waitcnt lgkmcnt(0)
	ds_write2_b64 v81, v[94:95], v[84:85] offset1:45
	ds_write2_b64 v81, v[88:89], v[90:91] offset0:90 offset1:135
	ds_write2_b64 v81, v[92:93], v[96:97] offset0:180 offset1:225
	ds_write_b64 v81, v[98:99] offset:2160
	ds_write2_b64 v86, v[100:101], v[76:77] offset1:45
	ds_write2_b64 v86, v[82:83], v[102:103] offset0:90 offset1:135
	ds_write2_b64 v86, v[104:105], v[106:107] offset0:180 offset1:225
	ds_write_b64 v86, v[108:109] offset:2160
	;; [unrolled: 4-line block ×3, first 2 shown]
	s_and_saveexec_b64 s[2:3], vcc
	s_cbranch_execz .LBB0_33
; %bb.32:
	v_add_f64 v[48:49], v[48:49], v[78:79]
	v_add_f64 v[50:51], v[50:51], v[68:69]
	v_add_f64 v[52:53], v[52:53], v[64:65]
	v_add_f64 v[46:47], v[58:59], -v[46:47]
	v_add_f64 v[40:41], v[40:41], -v[66:67]
	v_add_f64 v[38:39], v[38:39], -v[70:71]
	s_mov_b32 s6, 0x36b3c0b5
	s_mov_b32 s4, 0x37e14327
	;; [unrolled: 1-line block ×3, first 2 shown]
	v_add_f64 v[58:59], v[50:51], v[48:49]
	v_add_f64 v[64:65], v[48:49], -v[52:53]
	s_mov_b32 s5, 0x3fe948f6
	v_add_f64 v[66:67], v[46:47], v[40:41]
	v_add_f64 v[68:69], v[46:47], -v[40:41]
	v_add_f64 v[40:41], v[40:41], -v[38:39]
	s_mov_b32 s10, 0xe976ee23
	v_add_f64 v[48:49], v[50:51], -v[48:49]
	v_add_f64 v[58:59], v[52:53], v[58:59]
	v_add_f64 v[52:53], v[52:53], -v[50:51]
	s_mov_b32 s11, 0x3fe11646
	s_mov_b32 s14, 0x429ad128
	v_mul_f64 v[64:65], v[64:65], s[4:5]
	s_mov_b32 s15, 0xbfebfeb5
	v_add_f64 v[46:47], v[38:39], -v[46:47]
	v_add_f64 v[38:39], v[66:67], v[38:39]
	v_add_f64 v[12:13], v[12:13], v[58:59]
	v_mul_f64 v[50:51], v[52:53], s[6:7]
	v_mul_f64 v[66:67], v[68:69], s[10:11]
	;; [unrolled: 1-line block ×3, first 2 shown]
	s_mov_b32 s5, 0x3fe77f67
	s_mov_b32 s4, 0x5476071b
	v_fma_f64 v[52:53], v[52:53], s[6:7], v[64:65]
	v_fma_f64 v[58:59], v[58:59], s[16:17], v[12:13]
	v_fma_f64 v[50:51], v[48:49], s[4:5], -v[50:51]
	s_mov_b32 s5, 0xbfe77f67
	v_fma_f64 v[48:49], v[48:49], s[4:5], -v[64:65]
	s_mov_b32 s5, 0xbfd5d0dc
	s_mov_b32 s4, 0xb247c609
	v_fma_f64 v[64:65], v[46:47], s[4:5], v[66:67]
	s_mov_b32 s5, 0x3fd5d0dc
	v_fma_f64 v[46:47], v[46:47], s[4:5], -v[68:69]
	v_fma_f64 v[40:41], v[40:41], s[14:15], -v[66:67]
	s_mov_b32 s4, 0x37c3f68c
	s_mov_b32 s5, 0xbfdc38aa
	v_add_f64 v[52:53], v[52:53], v[58:59]
	v_add_f64 v[50:51], v[50:51], v[58:59]
	;; [unrolled: 1-line block ×3, first 2 shown]
	v_fma_f64 v[58:59], v[38:39], s[4:5], v[64:65]
	v_fma_f64 v[46:47], v[38:39], s[4:5], v[46:47]
	;; [unrolled: 1-line block ×3, first 2 shown]
	v_add_f64 v[40:41], v[52:53], -v[58:59]
	v_add_f64 v[64:65], v[48:49], -v[46:47]
	v_add_f64 v[66:67], v[38:39], v[50:51]
	v_add_f64 v[38:39], v[50:51], -v[38:39]
	v_add_f64 v[46:47], v[46:47], v[48:49]
	v_add_f64 v[48:49], v[58:59], v[52:53]
	v_add_u32_e32 v50, 0x2400, v80
	ds_write2_b64 v50, v[12:13], v[40:41] offset0:108 offset1:153
	v_add_u32_e32 v12, 0x2800, v80
	ds_write2_b64 v12, v[64:65], v[66:67] offset0:70 offset1:115
	ds_write2_b64 v12, v[38:39], v[46:47] offset0:160 offset1:205
	ds_write_b64 v80, v[48:49] offset:12240
.LBB0_33:
	s_or_b64 exec, exec, s[2:3]
	s_waitcnt lgkmcnt(0)
	; wave barrier
	s_waitcnt lgkmcnt(0)
	s_and_saveexec_b64 s[2:3], s[0:1]
	s_cbranch_execz .LBB0_35
; %bb.34:
	v_lshlrev_b32_e32 v86, 2, v154
	v_mov_b32_e32 v87, 0
	v_lshlrev_b64 v[12:13], 4, v[86:87]
	v_lshlrev_b32_e32 v86, 2, v157
	v_lshlrev_b64 v[50:51], 4, v[86:87]
	v_mov_b32_e32 v82, s9
	v_add_co_u32_e32 v38, vcc, s8, v12
	v_add_co_u32_e64 v52, s[0:1], s8, v50
	v_addc_co_u32_e32 v59, vcc, v82, v13, vcc
	s_movk_i32 s15, 0x1380
	v_addc_co_u32_e64 v53, s[0:1], v82, v51, s[0:1]
	v_add_co_u32_e32 v12, vcc, 0x1380, v38
	v_add_co_u32_e64 v50, s[0:1], s15, v52
	v_addc_co_u32_e32 v13, vcc, 0, v59, vcc
	s_movk_i32 s9, 0x1000
	v_addc_co_u32_e64 v51, s[0:1], 0, v53, s[0:1]
	v_add_co_u32_e32 v58, vcc, 0x1000, v38
	global_load_dwordx4 v[38:41], v[12:13], off offset:32
	global_load_dwordx4 v[46:49], v[12:13], off offset:16
	v_add_co_u32_e64 v52, s[0:1], s9, v52
	v_addc_co_u32_e64 v53, s[0:1], 0, v53, s[0:1]
	v_addc_co_u32_e32 v59, vcc, 0, v59, vcc
	global_load_dwordx4 v[76:79], v[52:53], off offset:896
	global_load_dwordx4 v[88:91], v[50:51], off offset:48
	;; [unrolled: 1-line block ×4, first 2 shown]
	s_nop 0
	global_load_dwordx4 v[50:53], v[58:59], off offset:896
	global_load_dwordx4 v[100:103], v[12:13], off offset:48
	v_add_u32_e32 v58, 0x1800, v149
	v_add_u32_e32 v59, 0xc00, v149
	;; [unrolled: 1-line block ×3, first 2 shown]
	ds_read_b64 v[12:13], v149 offset:12096
	v_add_u32_e32 v65, 0x400, v149
	ds_read2_b64 v[66:69], v58 offset0:114 offset1:177
	ds_read2_b64 v[104:107], v59 offset0:120 offset1:183
	;; [unrolled: 1-line block ×4, first 2 shown]
	v_lshlrev_b32_e32 v86, 2, v156
	v_lshlrev_b64 v[58:59], 4, v[86:87]
	v_add_u32_e32 v80, 0x1400, v149
	v_add_co_u32_e32 v126, vcc, s8, v58
	v_addc_co_u32_e32 v127, vcc, v82, v59, vcc
	v_add_u32_e32 v81, 0x2800, v149
	ds_read2_b64 v[112:115], v80 offset0:116 offset1:179
	ds_read2_b64 v[116:119], v81 offset0:106 offset1:169
	s_mov_b32 s6, 0x134454ff
	s_mov_b32 s7, 0x3fee6f0e
	s_mov_b32 s11, 0xbfee6f0e
	s_mov_b32 s10, s6
	s_mov_b32 s2, 0x4755a5e
	s_mov_b32 s3, 0xbfe2cf23
	s_mov_b32 s5, 0x3fe2cf23
	s_mov_b32 s4, s2
	s_mov_b32 s0, 0x372fe950
	s_mov_b32 s1, 0x3fd3c6ef
	s_movk_i32 s14, 0x2000
	s_waitcnt vmcnt(7)
	v_mul_f64 v[64:65], v[44:45], v[40:41]
	s_waitcnt vmcnt(6)
	v_mul_f64 v[58:59], v[18:19], v[48:49]
	s_waitcnt lgkmcnt(5)
	v_mul_f64 v[48:49], v[66:67], v[48:49]
	s_waitcnt lgkmcnt(3)
	v_mul_f64 v[40:41], v[110:111], v[40:41]
	s_waitcnt vmcnt(5)
	v_mul_f64 v[80:81], v[34:35], v[78:79]
	s_waitcnt vmcnt(4)
	;; [unrolled: 2-line block ×5, first 2 shown]
	v_mul_f64 v[120:121], v[74:75], v[102:103]
	v_mul_f64 v[52:53], v[106:107], v[52:53]
	;; [unrolled: 1-line block ×3, first 2 shown]
	v_fma_f64 v[58:59], v[46:47], v[66:67], -v[58:59]
	v_fma_f64 v[18:19], v[18:19], v[46:47], v[48:49]
	v_fma_f64 v[46:47], v[44:45], v[38:39], v[40:41]
	v_fma_f64 v[38:39], v[38:39], v[110:111], -v[64:65]
	v_fma_f64 v[40:41], v[50:51], v[106:107], -v[85:86]
	;; [unrolled: 1-line block ×3, first 2 shown]
	v_fma_f64 v[50:51], v[36:37], v[50:51], v[52:53]
	v_fma_f64 v[66:67], v[74:75], v[100:101], v[102:103]
	v_fma_f64 v[64:65], v[76:77], v[104:105], -v[80:81]
	s_waitcnt lgkmcnt(0)
	v_fma_f64 v[80:81], v[88:89], v[118:119], -v[83:84]
	v_add_f64 v[36:37], v[18:19], -v[46:47]
	v_add_f64 v[44:45], v[58:59], v[38:39]
	v_add_f64 v[52:53], v[58:59], -v[40:41]
	v_add_f64 v[85:86], v[40:41], v[12:13]
	;; [unrolled: 2-line block ×3, first 2 shown]
	v_add_f64 v[120:121], v[40:41], v[70:71]
	v_add_f64 v[100:101], v[50:51], -v[66:67]
	v_add_f64 v[74:75], v[58:59], -v[38:39]
	v_fma_f64 v[44:45], v[44:45], -0.5, v[70:71]
	v_add_f64 v[102:103], v[40:41], -v[58:59]
	v_fma_f64 v[70:71], v[85:86], -0.5, v[70:71]
	;; [unrolled: 2-line block ×3, first 2 shown]
	v_add_f64 v[83:84], v[52:53], v[83:84]
	v_add_f64 v[52:53], v[58:59], v[120:121]
	v_add_f64 v[110:111], v[12:13], -v[38:39]
	v_fma_f64 v[58:59], v[100:101], s[10:11], v[44:45]
	v_add_f64 v[122:123], v[18:19], -v[50:51]
	v_add_f64 v[124:125], v[46:47], -v[66:67]
	v_fma_f64 v[44:45], v[100:101], s[6:7], v[44:45]
	v_fma_f64 v[85:86], v[36:37], s[6:7], v[70:71]
	;; [unrolled: 1-line block ×4, first 2 shown]
	v_add_f64 v[38:39], v[38:39], v[52:53]
	v_add_f64 v[102:103], v[102:103], v[110:111]
	v_fma_f64 v[58:59], v[36:37], s[2:3], v[58:59]
	v_add_f64 v[48:49], v[18:19], v[46:47]
	v_add_f64 v[110:111], v[122:123], v[124:125]
	v_fma_f64 v[44:45], v[36:37], s[4:5], v[44:45]
	v_fma_f64 v[85:86], v[100:101], s[2:3], v[85:86]
	;; [unrolled: 1-line block ×4, first 2 shown]
	v_add_f64 v[52:53], v[12:13], v[38:39]
	v_add_co_u32_e32 v12, vcc, s15, v126
	v_addc_co_u32_e32 v13, vcc, 0, v127, vcc
	v_fma_f64 v[36:37], v[102:103], s[0:1], v[58:59]
	v_add_co_u32_e32 v58, vcc, s9, v126
	v_addc_co_u32_e32 v59, vcc, 0, v127, vcc
	v_fma_f64 v[136:137], v[48:49], -0.5, v[4:5]
	v_fma_f64 v[138:139], v[74:75], s[6:7], v[40:41]
	v_fma_f64 v[48:49], v[102:103], s[0:1], v[44:45]
	;; [unrolled: 1-line block ×5, first 2 shown]
	global_load_dwordx4 v[83:86], v[12:13], off offset:32
	global_load_dwordx4 v[100:103], v[12:13], off offset:16
	;; [unrolled: 1-line block ×4, first 2 shown]
	v_mul_f64 v[128:129], v[114:115], v[98:99]
	v_mul_f64 v[58:59], v[62:63], v[98:99]
	;; [unrolled: 1-line block ×3, first 2 shown]
	v_add_f64 v[134:135], v[50:51], -v[18:19]
	v_add_f64 v[4:5], v[4:5], v[50:51]
	v_add_f64 v[98:99], v[64:65], -v[80:81]
	v_fma_f64 v[70:71], v[62:63], v[96:97], v[128:129]
	v_fma_f64 v[128:129], v[42:43], v[92:93], v[130:131]
	v_add_f64 v[42:43], v[64:65], v[80:81]
	v_mul_f64 v[62:63], v[104:105], v[78:79]
	v_mul_f64 v[78:79], v[118:119], v[90:91]
	ds_read2_b64 v[104:107], v149 offset0:126 offset1:189
	v_fma_f64 v[90:91], v[96:97], v[114:115], -v[58:59]
	v_fma_f64 v[12:13], v[92:93], v[108:109], -v[12:13]
	v_add_f64 v[4:5], v[18:19], v[4:5]
	v_add_f64 v[92:93], v[70:71], -v[128:129]
	s_waitcnt lgkmcnt(0)
	v_fma_f64 v[50:51], v[42:43], -0.5, v[106:107]
	v_fma_f64 v[94:95], v[34:35], v[76:77], v[62:63]
	v_fma_f64 v[78:79], v[56:57], v[88:89], v[78:79]
	v_add_f64 v[34:35], v[66:67], -v[46:47]
	v_fma_f64 v[42:43], v[132:133], s[6:7], v[136:137]
	v_fma_f64 v[56:57], v[132:133], s[10:11], v[136:137]
	v_add_f64 v[18:19], v[90:91], -v[64:65]
	v_add_f64 v[58:59], v[12:13], -v[80:81]
	v_fma_f64 v[62:63], v[92:93], s[6:7], v[50:51]
	v_fma_f64 v[88:89], v[132:133], s[2:3], v[138:139]
	v_add_f64 v[76:77], v[94:95], -v[78:79]
	v_add_f64 v[96:97], v[134:135], v[34:35]
	v_fma_f64 v[34:35], v[74:75], s[4:5], v[42:43]
	v_fma_f64 v[56:57], v[74:75], s[2:3], v[56:57]
	v_add_f64 v[4:5], v[4:5], v[46:47]
	v_add_f64 v[18:19], v[18:19], v[58:59]
	;; [unrolled: 1-line block ×3, first 2 shown]
	v_fma_f64 v[42:43], v[110:111], s[0:1], v[88:89]
	v_fma_f64 v[62:63], v[76:77], s[2:3], v[62:63]
	;; [unrolled: 1-line block ×3, first 2 shown]
	v_add_f64 v[88:89], v[94:95], v[78:79]
	v_fma_f64 v[46:47], v[96:97], s[0:1], v[56:57]
	v_add_f64 v[50:51], v[4:5], v[66:67]
	v_add_f64 v[56:57], v[64:65], v[106:107]
	v_fma_f64 v[4:5], v[58:59], -0.5, v[106:107]
	v_add_f64 v[114:115], v[90:91], -v[12:13]
	v_fma_f64 v[58:59], v[18:19], s[0:1], v[62:63]
	v_fma_f64 v[62:63], v[76:77], s[4:5], v[74:75]
	v_fma_f64 v[74:75], v[88:89], -0.5, v[32:33]
	v_fma_f64 v[34:35], v[96:97], s[0:1], v[34:35]
	v_add_f64 v[66:67], v[64:65], -v[90:91]
	v_add_f64 v[88:89], v[80:81], -v[12:13]
	v_fma_f64 v[96:97], v[76:77], s[10:11], v[4:5]
	v_fma_f64 v[4:5], v[76:77], s[6:7], v[4:5]
	v_add_f64 v[56:57], v[90:91], v[56:57]
	v_add_f64 v[76:77], v[70:71], -v[94:95]
	v_fma_f64 v[64:65], v[114:115], s[10:11], v[74:75]
	v_fma_f64 v[74:75], v[114:115], s[6:7], v[74:75]
	v_add_f64 v[90:91], v[128:129], -v[78:79]
	v_add_f64 v[88:89], v[66:67], v[88:89]
	v_fma_f64 v[96:97], v[92:93], s[2:3], v[96:97]
	v_fma_f64 v[4:5], v[92:93], s[4:5], v[4:5]
	v_add_f64 v[12:13], v[12:13], v[56:57]
	v_add_f64 v[92:93], v[78:79], -v[128:129]
	v_fma_f64 v[56:57], v[98:99], s[4:5], v[64:65]
	v_fma_f64 v[64:65], v[98:99], s[2:3], v[74:75]
	v_add_f64 v[74:75], v[94:95], -v[70:71]
	v_add_f64 v[66:67], v[70:71], v[128:129]
	v_add_f64 v[90:91], v[76:77], v[90:91]
	v_fma_f64 v[76:77], v[88:89], s[0:1], v[4:5]
	v_add_f64 v[80:81], v[80:81], v[12:13]
	v_add_f64 v[4:5], v[74:75], v[92:93]
	v_add_u32_e32 v74, 0x800, v149
	v_fma_f64 v[106:107], v[66:67], -0.5, v[32:33]
	v_fma_f64 v[66:67], v[18:19], s[0:1], v[62:63]
	v_fma_f64 v[62:63], v[88:89], s[0:1], v[96:97]
	;; [unrolled: 1-line block ×4, first 2 shown]
	ds_read2_b64 v[88:91], v74 offset0:122 offset1:185
	v_add_u32_e32 v74, 0x1c00, v149
	v_add_f64 v[18:19], v[32:33], v[94:95]
	ds_read2_b64 v[92:95], v74 offset0:112 offset1:175
	s_waitcnt vmcnt(3)
	v_mul_f64 v[96:97], v[28:29], v[85:86]
	s_waitcnt vmcnt(1)
	v_mul_f64 v[74:75], v[24:25], v[122:123]
	v_mul_f64 v[32:33], v[60:61], v[102:103]
	s_waitcnt vmcnt(0)
	v_mul_f64 v[108:109], v[54:55], v[126:127]
	s_waitcnt lgkmcnt(0)
	v_mul_f64 v[85:86], v[94:95], v[85:86]
	v_mul_f64 v[102:103], v[112:113], v[102:103]
	v_add_f64 v[18:19], v[70:71], v[18:19]
	v_fma_f64 v[12:13], v[98:99], s[6:7], v[106:107]
	v_fma_f64 v[130:131], v[83:84], v[94:95], -v[96:97]
	v_fma_f64 v[70:71], v[120:121], v[90:91], -v[74:75]
	v_fma_f64 v[118:119], v[98:99], s[10:11], v[106:107]
	v_fma_f64 v[32:33], v[100:101], v[112:113], -v[32:33]
	v_fma_f64 v[136:137], v[28:29], v[83:84], v[85:86]
	v_lshlrev_b32_e32 v86, 2, v155
	v_lshlrev_b64 v[74:75], 4, v[86:87]
	v_fma_f64 v[132:133], v[124:125], v[116:117], -v[108:109]
	v_add_co_u32_e32 v83, vcc, s8, v74
	v_addc_co_u32_e32 v84, vcc, v82, v75, vcc
	v_add_co_u32_e32 v74, vcc, s15, v83
	v_addc_co_u32_e32 v75, vcc, 0, v84, vcc
	v_add_co_u32_e32 v83, vcc, s9, v83
	v_addc_co_u32_e32 v84, vcc, 0, v84, vcc
	v_fma_f64 v[134:135], v[60:61], v[100:101], v[102:103]
	global_load_dwordx4 v[94:97], v[83:84], off offset:896
	global_load_dwordx4 v[98:101], v[74:75], off offset:32
	;; [unrolled: 1-line block ×4, first 2 shown]
	v_mul_f64 v[28:29], v[90:91], v[122:123]
	v_mul_f64 v[60:61], v[116:117], v[126:127]
	v_fma_f64 v[12:13], v[114:115], s[4:5], v[12:13]
	v_add_f64 v[74:75], v[70:71], v[132:133]
	v_fma_f64 v[83:84], v[114:115], s[2:3], v[118:119]
	v_add_f64 v[18:19], v[18:19], v[128:129]
	v_add_f64 v[114:115], v[70:71], -v[32:33]
	v_add_f64 v[116:117], v[132:133], -v[130:131]
	v_fma_f64 v[90:91], v[24:25], v[120:121], v[28:29]
	v_fma_f64 v[54:55], v[54:55], v[124:125], v[60:61]
	v_add_f64 v[24:25], v[32:33], v[130:131]
	v_fma_f64 v[60:61], v[4:5], s[0:1], v[12:13]
	v_add_f64 v[28:29], v[134:135], -v[136:137]
	v_fma_f64 v[85:86], v[74:75], -0.5, v[104:105]
	v_fma_f64 v[74:75], v[4:5], s[0:1], v[83:84]
	v_add_f64 v[4:5], v[32:33], -v[70:71]
	v_add_f64 v[83:84], v[130:131], -v[132:133]
	;; [unrolled: 1-line block ×3, first 2 shown]
	v_fma_f64 v[24:25], v[24:25], -0.5, v[104:105]
	v_add_f64 v[102:103], v[90:91], v[54:55]
	v_add_f64 v[78:79], v[18:19], v[78:79]
	v_fma_f64 v[18:19], v[28:29], s[6:7], v[85:86]
	v_fma_f64 v[85:86], v[28:29], s[10:11], v[85:86]
	v_add_f64 v[138:139], v[32:33], -v[130:131]
	v_add_f64 v[4:5], v[4:5], v[83:84]
	v_add_f64 v[83:84], v[70:71], v[104:105]
	v_fma_f64 v[118:119], v[12:13], s[10:11], v[24:25]
	v_fma_f64 v[102:103], v[102:103], -0.5, v[30:31]
	v_add_f64 v[120:121], v[114:115], v[116:117]
	v_fma_f64 v[18:19], v[12:13], s[2:3], v[18:19]
	v_fma_f64 v[104:105], v[12:13], s[4:5], v[85:86]
	v_lshlrev_b32_e32 v86, 2, v148
	v_fma_f64 v[24:25], v[12:13], s[6:7], v[24:25]
	v_add_f64 v[32:33], v[32:33], v[83:84]
	v_fma_f64 v[114:115], v[28:29], s[2:3], v[118:119]
	v_add_f64 v[116:117], v[134:135], -v[90:91]
	v_add_f64 v[118:119], v[136:137], -v[54:55]
	v_fma_f64 v[122:123], v[138:139], s[10:11], v[102:103]
	v_fma_f64 v[126:127], v[138:139], s[6:7], v[102:103]
	v_lshlrev_b64 v[102:103], 4, v[86:87]
	v_fma_f64 v[84:85], v[4:5], s[0:1], v[18:19]
	v_add_co_u32_e32 v86, vcc, s8, v102
	v_fma_f64 v[12:13], v[120:121], s[0:1], v[114:115]
	v_addc_co_u32_e32 v114, vcc, v82, v103, vcc
	v_add_co_u32_e32 v82, vcc, s9, v86
	v_addc_co_u32_e32 v83, vcc, 0, v114, vcc
	v_fma_f64 v[18:19], v[4:5], s[0:1], v[104:105]
	global_load_dwordx4 v[102:105], v[82:83], off offset:896
	v_add_co_u32_e32 v82, vcc, s15, v86
	v_addc_co_u32_e32 v83, vcc, 0, v114, vcc
	v_add_f64 v[70:71], v[70:71], -v[132:133]
	v_fma_f64 v[24:25], v[28:29], s[4:5], v[24:25]
	v_add_f64 v[28:29], v[130:131], v[32:33]
	v_add_f64 v[130:131], v[116:117], v[118:119]
	global_load_dwordx4 v[114:117], v[82:83], off offset:48
	v_add_f64 v[4:5], v[134:135], v[136:137]
	v_add_f64 v[128:129], v[90:91], -v[134:135]
	v_add_f64 v[140:141], v[54:55], -v[136:137]
	v_fma_f64 v[32:33], v[70:71], s[4:5], v[122:123]
	v_fma_f64 v[24:25], v[120:121], s[0:1], v[24:25]
	global_load_dwordx4 v[118:121], v[82:83], off offset:32
	global_load_dwordx4 v[122:125], v[82:83], off offset:16
	v_add_f64 v[28:29], v[132:133], v[28:29]
	v_fma_f64 v[132:133], v[70:71], s[2:3], v[126:127]
	v_fma_f64 v[4:5], v[4:5], -0.5, v[30:31]
	v_add_u32_e32 v86, 0x2400, v149
	v_add_f64 v[140:141], v[128:129], v[140:141]
	v_fma_f64 v[82:83], v[130:131], s[0:1], v[32:33]
	ds_read2_b64 v[126:129], v86 offset0:108 offset1:171
	v_fma_f64 v[142:143], v[70:71], s[6:7], v[4:5]
	v_fma_f64 v[4:5], v[70:71], s[10:11], v[4:5]
	v_add_f64 v[70:71], v[30:31], v[90:91]
	s_waitcnt vmcnt(7)
	v_mul_f64 v[90:91], v[22:23], v[96:97]
	s_waitcnt vmcnt(4)
	v_mul_f64 v[146:147], v[10:11], v[112:113]
	v_add_u32_e32 v30, 0x1000, v149
	ds_read2_b64 v[30:33], v30 offset0:118 offset1:181
	v_mul_f64 v[144:145], v[16:17], v[108:109]
	v_fma_f64 v[142:143], v[138:139], s[4:5], v[142:143]
	v_mul_f64 v[152:153], v[26:27], v[100:101]
	v_fma_f64 v[4:5], v[138:139], s[2:3], v[4:5]
	v_fma_f64 v[138:139], v[94:95], v[88:89], -v[90:91]
	s_waitcnt lgkmcnt(0)
	v_mul_f64 v[90:91], v[32:33], v[108:109]
	v_mul_f64 v[100:101], v[92:93], v[100:101]
	v_fma_f64 v[108:109], v[110:111], v[128:129], -v[146:147]
	v_fma_f64 v[32:33], v[106:107], v[32:33], -v[144:145]
	v_mul_f64 v[96:97], v[88:89], v[96:97]
	v_fma_f64 v[92:93], v[98:99], v[92:93], -v[152:153]
	v_mul_f64 v[112:113], v[128:129], v[112:113]
	v_add_f64 v[70:71], v[134:135], v[70:71]
	v_fma_f64 v[106:107], v[16:17], v[106:107], v[90:91]
	v_fma_f64 v[98:99], v[26:27], v[98:99], v[100:101]
	v_add_f64 v[16:17], v[138:139], v[108:109]
	ds_read2_b64 v[88:91], v149 offset1:63
	v_add_f64 v[26:27], v[32:33], -v[138:139]
	v_add_f64 v[100:101], v[92:93], -v[108:109]
	v_fma_f64 v[94:95], v[22:23], v[94:95], v[96:97]
	v_fma_f64 v[110:111], v[10:11], v[110:111], v[112:113]
	v_add_f64 v[96:97], v[32:33], v[92:93]
	v_add_f64 v[112:113], v[106:107], -v[98:99]
	s_waitcnt lgkmcnt(0)
	v_fma_f64 v[128:129], v[16:17], -0.5, v[90:91]
	v_fma_f64 v[16:17], v[130:131], s[0:1], v[132:133]
	v_fma_f64 v[22:23], v[140:141], s[0:1], v[4:5]
	v_add_f64 v[4:5], v[70:71], v[136:137]
	v_add_f64 v[100:101], v[26:27], v[100:101]
	v_add_f64 v[70:71], v[94:95], -v[110:111]
	v_fma_f64 v[96:97], v[96:97], -0.5, v[90:91]
	v_add_f64 v[130:131], v[94:95], v[110:111]
	v_fma_f64 v[26:27], v[112:113], s[6:7], v[128:129]
	v_fma_f64 v[128:129], v[112:113], s[10:11], v[128:129]
	v_add_f64 v[90:91], v[138:139], v[90:91]
	v_fma_f64 v[10:11], v[140:141], s[0:1], v[142:143]
	v_add_f64 v[132:133], v[138:139], -v[32:33]
	v_add_f64 v[134:135], v[108:109], -v[92:93]
	v_fma_f64 v[136:137], v[70:71], s[10:11], v[96:97]
	v_fma_f64 v[96:97], v[70:71], s[6:7], v[96:97]
	;; [unrolled: 1-line block ×4, first 2 shown]
	v_fma_f64 v[128:129], v[130:131], -0.5, v[2:3]
	v_add_f64 v[130:131], v[32:33], -v[92:93]
	v_add_f64 v[32:33], v[32:33], v[90:91]
	v_add_f64 v[132:133], v[132:133], v[134:135]
	v_fma_f64 v[90:91], v[112:113], s[2:3], v[136:137]
	v_fma_f64 v[96:97], v[112:113], s[4:5], v[96:97]
	v_add_f64 v[112:113], v[106:107], -v[94:95]
	v_add_f64 v[134:135], v[98:99], -v[110:111]
	v_add_f64 v[26:27], v[4:5], v[54:55]
	v_add_f64 v[136:137], v[138:139], -v[108:109]
	v_add_f64 v[54:55], v[92:93], v[32:33]
	v_fma_f64 v[138:139], v[130:131], s[10:11], v[128:129]
	v_fma_f64 v[92:93], v[100:101], s[0:1], v[140:141]
	;; [unrolled: 1-line block ×4, first 2 shown]
	v_add_f64 v[100:101], v[112:113], v[134:135]
	s_waitcnt vmcnt(3)
	v_mul_f64 v[112:113], v[6:7], v[104:105]
	v_fma_f64 v[32:33], v[132:133], s[0:1], v[90:91]
	v_add_f64 v[96:97], v[108:109], v[54:55]
	s_waitcnt vmcnt(2)
	v_mul_f64 v[108:109], v[8:9], v[116:117]
	v_fma_f64 v[90:91], v[136:137], s[4:5], v[138:139]
	v_fma_f64 v[54:55], v[130:131], s[6:7], v[128:129]
	v_add_f64 v[128:129], v[94:95], -v[106:107]
	v_add_f64 v[132:133], v[110:111], -v[98:99]
	v_add_f64 v[134:135], v[106:107], v[98:99]
	v_fma_f64 v[112:113], v[102:103], v[72:73], -v[112:113]
	s_waitcnt vmcnt(0)
	v_mul_f64 v[138:139], v[30:31], v[124:125]
	v_mul_f64 v[140:141], v[68:69], v[120:121]
	v_fma_f64 v[142:143], v[114:115], v[126:127], -v[108:109]
	v_mul_f64 v[124:125], v[14:15], v[124:125]
	v_mul_f64 v[120:121], v[20:21], v[120:121]
	v_add_f64 v[108:109], v[128:129], v[132:133]
	v_fma_f64 v[128:129], v[134:135], -0.5, v[2:3]
	v_mul_f64 v[72:73], v[72:73], v[104:105]
	v_fma_f64 v[14:15], v[14:15], v[122:123], v[138:139]
	v_fma_f64 v[20:21], v[20:21], v[118:119], v[140:141]
	v_add_f64 v[132:133], v[112:113], v[142:143]
	v_mul_f64 v[104:105], v[126:127], v[116:117]
	v_add_f64 v[2:3], v[2:3], v[94:95]
	v_fma_f64 v[122:123], v[122:123], v[30:31], -v[124:125]
	v_fma_f64 v[116:117], v[136:137], s[6:7], v[128:129]
	v_fma_f64 v[118:119], v[118:119], v[68:69], -v[120:121]
	v_fma_f64 v[6:7], v[6:7], v[102:103], v[72:73]
	v_add_f64 v[120:121], v[14:15], -v[20:21]
	v_fma_f64 v[30:31], v[132:133], -0.5, v[88:89]
	v_fma_f64 v[72:73], v[8:9], v[114:115], v[104:105]
	v_add_f64 v[2:3], v[106:107], v[2:3]
	v_fma_f64 v[54:55], v[136:137], s[2:3], v[54:55]
	v_fma_f64 v[8:9], v[136:137], s[10:11], v[128:129]
	;; [unrolled: 1-line block ×3, first 2 shown]
	v_add_f64 v[94:95], v[122:123], -v[112:113]
	v_add_f64 v[102:103], v[118:119], -v[142:143]
	v_add_f64 v[104:105], v[122:123], v[118:119]
	v_fma_f64 v[106:107], v[120:121], s[6:7], v[30:31]
	v_add_f64 v[114:115], v[6:7], -v[72:73]
	v_add_f64 v[98:99], v[2:3], v[98:99]
	v_fma_f64 v[116:117], v[120:121], s[10:11], v[30:31]
	v_fma_f64 v[90:91], v[100:101], s[0:1], v[90:91]
	;; [unrolled: 1-line block ×4, first 2 shown]
	v_fma_f64 v[54:55], v[104:105], -0.5, v[88:89]
	v_add_f64 v[100:101], v[94:95], v[102:103]
	v_fma_f64 v[102:103], v[114:115], s[2:3], v[106:107]
	v_add_f64 v[94:95], v[98:99], v[110:111]
	v_fma_f64 v[98:99], v[114:115], s[4:5], v[116:117]
	v_fma_f64 v[30:31], v[108:109], s[0:1], v[68:69]
	;; [unrolled: 1-line block ×3, first 2 shown]
	v_add_f64 v[104:105], v[112:113], -v[122:123]
	v_add_f64 v[106:107], v[142:143], -v[118:119]
	v_fma_f64 v[108:109], v[114:115], s[10:11], v[54:55]
	v_add_f64 v[110:111], v[6:7], v[72:73]
	v_fma_f64 v[8:9], v[100:101], s[0:1], v[102:103]
	v_fma_f64 v[100:101], v[100:101], s[0:1], v[98:99]
	v_add_f64 v[98:99], v[14:15], v[20:21]
	v_fma_f64 v[54:55], v[114:115], s[6:7], v[54:55]
	v_add_f64 v[88:89], v[112:113], v[88:89]
	v_add_f64 v[102:103], v[104:105], v[106:107]
	v_fma_f64 v[104:105], v[120:121], s[2:3], v[108:109]
	v_fma_f64 v[106:107], v[110:111], -0.5, v[0:1]
	v_add_f64 v[108:109], v[122:123], -v[118:119]
	v_add_f64 v[110:111], v[112:113], -v[142:143]
	v_fma_f64 v[98:99], v[98:99], -0.5, v[0:1]
	v_add_f64 v[0:1], v[0:1], v[6:7]
	v_fma_f64 v[54:55], v[120:121], s[4:5], v[54:55]
	v_add_f64 v[88:89], v[122:123], v[88:89]
	v_add_f64 v[112:113], v[14:15], -v[6:7]
	v_add_f64 v[114:115], v[20:21], -v[72:73]
	v_fma_f64 v[116:117], v[108:109], s[10:11], v[106:107]
	v_fma_f64 v[106:107], v[108:109], s[6:7], v[106:107]
	v_add_f64 v[6:7], v[6:7], -v[14:15]
	v_add_f64 v[120:121], v[72:73], -v[20:21]
	v_fma_f64 v[122:123], v[110:111], s[6:7], v[98:99]
	v_fma_f64 v[98:99], v[110:111], s[10:11], v[98:99]
	v_add_f64 v[0:1], v[14:15], v[0:1]
	v_add_f64 v[14:15], v[118:119], v[88:89]
	v_add_f64 v[88:89], v[112:113], v[114:115]
	v_fma_f64 v[114:115], v[110:111], s[4:5], v[116:117]
	v_fma_f64 v[106:107], v[110:111], s[2:3], v[106:107]
	v_add_f64 v[110:111], v[6:7], v[120:121]
	v_fma_f64 v[116:117], v[108:109], s[4:5], v[122:123]
	v_fma_f64 v[118:119], v[108:109], s[2:3], v[98:99]
	v_add_f64 v[0:1], v[0:1], v[20:21]
	;; [unrolled: 3-line block ×3, first 2 shown]
	v_fma_f64 v[98:99], v[88:89], s[0:1], v[106:107]
	v_mov_b32_e32 v149, v87
	v_fma_f64 v[102:103], v[110:111], s[0:1], v[116:117]
	v_fma_f64 v[106:107], v[110:111], s[0:1], v[118:119]
	v_add_f64 v[110:111], v[0:1], v[72:73]
	v_mov_b32_e32 v0, s13
	v_add_co_u32_e32 v14, vcc, s12, v150
	v_addc_co_u32_e32 v15, vcc, v0, v151, vcc
	v_lshlrev_b64 v[0:1], 4, v[148:149]
	v_fma_f64 v[6:7], v[88:89], s[0:1], v[114:115]
	v_add_co_u32_e32 v0, vcc, v14, v0
	v_addc_co_u32_e32 v1, vcc, v15, v1, vcc
	v_add_co_u32_e32 v14, vcc, s9, v0
	v_addc_co_u32_e32 v15, vcc, 0, v1, vcc
	;; [unrolled: 2-line block ×3, first 2 shown]
	s_movk_i32 s0, 0x3000
	v_add_co_u32_e32 v54, vcc, s0, v0
	v_addc_co_u32_e32 v55, vcc, 0, v1, vcc
	s_movk_i32 s1, 0x4000
	global_store_dwordx4 v[54:55], v[6:9], off offset:2832
	global_store_dwordx4 v[0:1], v[110:113], off
	v_add_co_u32_e32 v6, vcc, s1, v0
	v_addc_co_u32_e32 v7, vcc, 0, v1, vcc
	s_movk_i32 s1, 0x5000
	global_store_dwordx4 v[14:15], v[106:109], off offset:944
	global_store_dwordx4 v[20:21], v[98:101], off offset:1888
	;; [unrolled: 1-line block ×7, first 2 shown]
	v_add_co_u32_e32 v2, vcc, s1, v0
	s_mov_b32 s1, 0xa01a01a1
	v_mul_hi_u32 v4, v154, s1
	v_addc_co_u32_e32 v3, vcc, 0, v1, vcc
	global_store_dwordx4 v[2:3], v[30:33], off offset:688
	global_store_dwordx4 v[0:1], v[26:29], off offset:2016
	;; [unrolled: 1-line block ×11, first 2 shown]
	v_sub_u32_e32 v2, v154, v4
	v_lshrrev_b32_e32 v2, 1, v2
	v_add_u32_e32 v2, v2, v4
	v_lshrrev_b32_e32 v2, 8, v2
	v_mul_u32_u24_e32 v86, 0x4ec, v2
	v_lshlrev_b64 v[2:3], 4, v[86:87]
	v_add_co_u32_e32 v0, vcc, v0, v2
	v_addc_co_u32_e32 v1, vcc, v1, v3, vcc
	v_add_co_u32_e32 v2, vcc, s14, v0
	v_addc_co_u32_e32 v3, vcc, 0, v1, vcc
	global_store_dwordx4 v[2:3], v[46:49], off offset:880
	v_add_co_u32_e32 v2, vcc, s0, v0
	v_addc_co_u32_e32 v3, vcc, 0, v1, vcc
	global_store_dwordx4 v[2:3], v[42:45], off offset:1824
	;; [unrolled: 3-line block ×4, first 2 shown]
	global_store_dwordx4 v[0:1], v[34:37], off offset:3712
.LBB0_35:
	s_endpgm
	.section	.rodata,"a",@progbits
	.p2align	6, 0x0
	.amdhsa_kernel fft_rtc_back_len1575_factors_3_3_5_7_5_wgs_63_tpt_63_halfLds_dp_ip_CI_unitstride_sbrr_dirReg
		.amdhsa_group_segment_fixed_size 0
		.amdhsa_private_segment_fixed_size 0
		.amdhsa_kernarg_size 88
		.amdhsa_user_sgpr_count 6
		.amdhsa_user_sgpr_private_segment_buffer 1
		.amdhsa_user_sgpr_dispatch_ptr 0
		.amdhsa_user_sgpr_queue_ptr 0
		.amdhsa_user_sgpr_kernarg_segment_ptr 1
		.amdhsa_user_sgpr_dispatch_id 0
		.amdhsa_user_sgpr_flat_scratch_init 0
		.amdhsa_user_sgpr_private_segment_size 0
		.amdhsa_uses_dynamic_stack 0
		.amdhsa_system_sgpr_private_segment_wavefront_offset 0
		.amdhsa_system_sgpr_workgroup_id_x 1
		.amdhsa_system_sgpr_workgroup_id_y 0
		.amdhsa_system_sgpr_workgroup_id_z 0
		.amdhsa_system_sgpr_workgroup_info 0
		.amdhsa_system_vgpr_workitem_id 0
		.amdhsa_next_free_vgpr 249
		.amdhsa_next_free_sgpr 28
		.amdhsa_reserve_vcc 1
		.amdhsa_reserve_flat_scratch 0
		.amdhsa_float_round_mode_32 0
		.amdhsa_float_round_mode_16_64 0
		.amdhsa_float_denorm_mode_32 3
		.amdhsa_float_denorm_mode_16_64 3
		.amdhsa_dx10_clamp 1
		.amdhsa_ieee_mode 1
		.amdhsa_fp16_overflow 0
		.amdhsa_exception_fp_ieee_invalid_op 0
		.amdhsa_exception_fp_denorm_src 0
		.amdhsa_exception_fp_ieee_div_zero 0
		.amdhsa_exception_fp_ieee_overflow 0
		.amdhsa_exception_fp_ieee_underflow 0
		.amdhsa_exception_fp_ieee_inexact 0
		.amdhsa_exception_int_div_zero 0
	.end_amdhsa_kernel
	.text
.Lfunc_end0:
	.size	fft_rtc_back_len1575_factors_3_3_5_7_5_wgs_63_tpt_63_halfLds_dp_ip_CI_unitstride_sbrr_dirReg, .Lfunc_end0-fft_rtc_back_len1575_factors_3_3_5_7_5_wgs_63_tpt_63_halfLds_dp_ip_CI_unitstride_sbrr_dirReg
                                        ; -- End function
	.section	.AMDGPU.csdata,"",@progbits
; Kernel info:
; codeLenInByte = 19192
; NumSgprs: 32
; NumVgprs: 249
; ScratchSize: 0
; MemoryBound: 1
; FloatMode: 240
; IeeeMode: 1
; LDSByteSize: 0 bytes/workgroup (compile time only)
; SGPRBlocks: 3
; VGPRBlocks: 62
; NumSGPRsForWavesPerEU: 32
; NumVGPRsForWavesPerEU: 249
; Occupancy: 1
; WaveLimiterHint : 1
; COMPUTE_PGM_RSRC2:SCRATCH_EN: 0
; COMPUTE_PGM_RSRC2:USER_SGPR: 6
; COMPUTE_PGM_RSRC2:TRAP_HANDLER: 0
; COMPUTE_PGM_RSRC2:TGID_X_EN: 1
; COMPUTE_PGM_RSRC2:TGID_Y_EN: 0
; COMPUTE_PGM_RSRC2:TGID_Z_EN: 0
; COMPUTE_PGM_RSRC2:TIDIG_COMP_CNT: 0
	.type	__hip_cuid_3744f706f07ccbd4,@object ; @__hip_cuid_3744f706f07ccbd4
	.section	.bss,"aw",@nobits
	.globl	__hip_cuid_3744f706f07ccbd4
__hip_cuid_3744f706f07ccbd4:
	.byte	0                               ; 0x0
	.size	__hip_cuid_3744f706f07ccbd4, 1

	.ident	"AMD clang version 19.0.0git (https://github.com/RadeonOpenCompute/llvm-project roc-6.4.0 25133 c7fe45cf4b819c5991fe208aaa96edf142730f1d)"
	.section	".note.GNU-stack","",@progbits
	.addrsig
	.addrsig_sym __hip_cuid_3744f706f07ccbd4
	.amdgpu_metadata
---
amdhsa.kernels:
  - .args:
      - .actual_access:  read_only
        .address_space:  global
        .offset:         0
        .size:           8
        .value_kind:     global_buffer
      - .offset:         8
        .size:           8
        .value_kind:     by_value
      - .actual_access:  read_only
        .address_space:  global
        .offset:         16
        .size:           8
        .value_kind:     global_buffer
      - .actual_access:  read_only
        .address_space:  global
        .offset:         24
        .size:           8
        .value_kind:     global_buffer
      - .offset:         32
        .size:           8
        .value_kind:     by_value
      - .actual_access:  read_only
        .address_space:  global
        .offset:         40
        .size:           8
        .value_kind:     global_buffer
      - .actual_access:  read_only
        .address_space:  global
        .offset:         48
        .size:           8
        .value_kind:     global_buffer
      - .offset:         56
        .size:           4
        .value_kind:     by_value
      - .actual_access:  read_only
        .address_space:  global
        .offset:         64
        .size:           8
        .value_kind:     global_buffer
      - .actual_access:  read_only
        .address_space:  global
        .offset:         72
        .size:           8
        .value_kind:     global_buffer
      - .address_space:  global
        .offset:         80
        .size:           8
        .value_kind:     global_buffer
    .group_segment_fixed_size: 0
    .kernarg_segment_align: 8
    .kernarg_segment_size: 88
    .language:       OpenCL C
    .language_version:
      - 2
      - 0
    .max_flat_workgroup_size: 63
    .name:           fft_rtc_back_len1575_factors_3_3_5_7_5_wgs_63_tpt_63_halfLds_dp_ip_CI_unitstride_sbrr_dirReg
    .private_segment_fixed_size: 0
    .sgpr_count:     32
    .sgpr_spill_count: 0
    .symbol:         fft_rtc_back_len1575_factors_3_3_5_7_5_wgs_63_tpt_63_halfLds_dp_ip_CI_unitstride_sbrr_dirReg.kd
    .uniform_work_group_size: 1
    .uses_dynamic_stack: false
    .vgpr_count:     249
    .vgpr_spill_count: 0
    .wavefront_size: 64
amdhsa.target:   amdgcn-amd-amdhsa--gfx906
amdhsa.version:
  - 1
  - 2
...

	.end_amdgpu_metadata
